;; amdgpu-corpus repo=zjin-lcf/HeCBench kind=compiled arch=gfx90a opt=O3
	.text
	.amdgcn_target "amdgcn-amd-amdhsa--gfx90a"
	.amdhsa_code_object_version 6
	.section	.text._Z30addBiasResidualPostLayerNormV2IfLi64EEvPT_PKS0_S3_S3_S3_fi,"axG",@progbits,_Z30addBiasResidualPostLayerNormV2IfLi64EEvPT_PKS0_S3_S3_S3_fi,comdat
	.protected	_Z30addBiasResidualPostLayerNormV2IfLi64EEvPT_PKS0_S3_S3_S3_fi ; -- Begin function _Z30addBiasResidualPostLayerNormV2IfLi64EEvPT_PKS0_S3_S3_S3_fi
	.globl	_Z30addBiasResidualPostLayerNormV2IfLi64EEvPT_PKS0_S3_S3_S3_fi
	.p2align	8
	.type	_Z30addBiasResidualPostLayerNormV2IfLi64EEvPT_PKS0_S3_S3_S3_fi,@function
_Z30addBiasResidualPostLayerNormV2IfLi64EEvPT_PKS0_S3_S3_S3_fi: ; @_Z30addBiasResidualPostLayerNormV2IfLi64EEvPT_PKS0_S3_S3_S3_fi
; %bb.0:
	s_load_dwordx2 s[16:17], s[4:5], 0x28
	s_load_dword s7, s[4:5], 0x3c
	s_load_dwordx4 s[8:11], s[4:5], 0x0
	s_load_dwordx2 s[0:1], s[4:5], 0x10
	s_add_u32 s2, s4, 48
	s_waitcnt lgkmcnt(0)
	s_mul_i32 s6, s6, s17
	s_addc_u32 s3, s5, 0
	s_lshr_b32 s12, s6, 31
	s_add_i32 s6, s6, s12
	s_ashr_i32 s6, s6, 1
	v_add_u32_e32 v4, s6, v0
	v_ashrrev_i32_e32 v5, 31, v4
	v_lshlrev_b64 v[6:7], 3, v[4:5]
	v_mov_b32_e32 v1, s9
	v_add_co_u32_e32 v2, vcc, s8, v6
	v_addc_co_u32_e32 v3, vcc, v1, v7, vcc
	s_and_b32 s7, s7, 0xffff
	v_mov_b32_e32 v30, s11
	v_add_co_u32_e32 v6, vcc, s10, v6
	v_addc_co_u32_e32 v7, vcc, v30, v7, vcc
	v_lshlrev_b32_e32 v5, 3, v0
	v_add_u32_e32 v12, s7, v4
	v_mov_b32_e32 v10, s1
	v_add_co_u32_e32 v18, vcc, s0, v5
	v_ashrrev_i32_e32 v13, 31, v12
	v_addc_co_u32_e32 v19, vcc, 0, v10, vcc
	v_lshlrev_b64 v[14:15], 3, v[12:13]
	v_add_co_u32_e32 v16, vcc, s8, v14
	v_addc_co_u32_e32 v17, vcc, v1, v15, vcc
	v_add_co_u32_e32 v14, vcc, s10, v14
	global_load_dwordx2 v[10:11], v5, s[0:1]
	v_addc_co_u32_e32 v15, vcc, v30, v15, vcc
	s_lshl_b32 s0, s7, 3
	v_add_u32_e32 v12, s7, v12
	v_add_co_u32_e32 v18, vcc, s0, v18
	v_ashrrev_i32_e32 v13, 31, v12
	v_addc_co_u32_e32 v19, vcc, 0, v19, vcc
	v_lshlrev_b64 v[22:23], 3, v[12:13]
	v_add_co_u32_e32 v24, vcc, s8, v22
	v_addc_co_u32_e32 v25, vcc, v1, v23, vcc
	v_add_co_u32_e32 v22, vcc, s10, v22
	v_addc_co_u32_e32 v23, vcc, v30, v23, vcc
	v_add_u32_e32 v12, s7, v12
	global_load_dwordx2 v[20:21], v[18:19], off
	v_add_co_u32_e32 v18, vcc, s0, v18
	v_ashrrev_i32_e32 v13, 31, v12
	v_addc_co_u32_e32 v19, vcc, 0, v19, vcc
	v_lshlrev_b64 v[12:13], 3, v[12:13]
	v_add_co_u32_e32 v28, vcc, s8, v12
	v_addc_co_u32_e32 v29, vcc, v1, v13, vcc
	global_load_dwordx2 v[8:9], v[2:3], off
	v_add_co_u32_e32 v12, vcc, s10, v12
	global_load_dwordx2 v[6:7], v[6:7], off
	v_addc_co_u32_e32 v13, vcc, v30, v13, vcc
	global_load_dwordx2 v[12:13], v[12:13], off
	s_waitcnt vmcnt(1)
	v_pk_add_f32 v[6:7], v[8:9], v[6:7]
	global_load_dwordx2 v[16:17], v[16:17], off
	v_pk_add_f32 v[6:7], v[10:11], v[6:7]
	global_load_dwordx2 v[14:15], v[14:15], off
	v_pk_add_f32 v[10:11], v[6:7], 0 op_sel_hi:[1,0]
	global_load_dwordx2 v[24:25], v[24:25], off
	s_waitcnt vmcnt(1)
	v_pk_add_f32 v[8:9], v[16:17], v[14:15]
	global_load_dwordx2 v[28:29], v[28:29], off
	v_pk_add_f32 v[8:9], v[20:21], v[8:9]
	global_load_dwordx2 v[22:23], v[22:23], off
	;; [unrolled: 2-line block ×3, first 2 shown]
	v_add_co_u32_e32 v18, vcc, s0, v18
	v_addc_co_u32_e32 v19, vcc, 0, v19, vcc
	global_load_dwordx2 v[18:19], v[18:19], off
	s_waitcnt vmcnt(3)
	v_pk_add_f32 v[12:13], v[28:29], v[12:13]
	s_waitcnt vmcnt(2)
	v_pk_add_f32 v[14:15], v[24:25], v[22:23]
	;; [unrolled: 2-line block ×3, first 2 shown]
	v_pk_add_f32 v[14:15], v[10:11], v[16:17]
	s_waitcnt vmcnt(0)
	v_pk_add_f32 v[12:13], v[18:19], v[12:13]
	v_pk_add_f32 v[14:15], v[12:13], v[14:15]
	v_add_f32_e32 v1, v14, v15
	v_mbcnt_lo_u32_b32 v14, -1, 0
	v_mbcnt_hi_u32_b32 v19, -1, v14
	v_and_b32_e32 v14, 64, v19
	v_add_u32_e32 v21, 64, v14
	v_xor_b32_e32 v14, 32, v19
	v_cmp_lt_i32_e32 vcc, v14, v21
	v_cndmask_b32_e32 v14, v19, v14, vcc
	v_lshlrev_b32_e32 v14, 2, v14
	ds_bpermute_b32 v15, v14, v1
	s_waitcnt lgkmcnt(0)
	v_add_f32_e32 v1, v1, v15
	v_xor_b32_e32 v15, 16, v19
	v_cmp_lt_i32_e32 vcc, v15, v21
	v_cndmask_b32_e32 v15, v19, v15, vcc
	v_lshlrev_b32_e32 v15, 2, v15
	ds_bpermute_b32 v16, v15, v1
	s_waitcnt lgkmcnt(0)
	v_add_f32_e32 v1, v1, v16
	;; [unrolled: 7-line block ×5, first 2 shown]
	v_xor_b32_e32 v1, 1, v19
	v_cmp_lt_i32_e32 vcc, v1, v21
	v_cndmask_b32_e32 v1, v19, v1, vcc
	v_lshlrev_b32_e32 v19, 2, v1
	ds_bpermute_b32 v22, v19, v20
	v_and_b32_e32 v1, 63, v0
	v_cmp_eq_u32_e64 s[0:1], 0, v1
	v_lshrrev_b32_e32 v21, 4, v0
	s_and_saveexec_b64 s[6:7], s[0:1]
	s_cbranch_execz .LBB0_2
; %bb.1:
	s_waitcnt lgkmcnt(0)
	v_add_f32_e32 v20, v20, v22
	ds_write_b32 v21, v20
.LBB0_2:
	s_or_b64 exec, exec, s[6:7]
	s_waitcnt lgkmcnt(0)
	s_barrier
	s_load_dword s18, s[2:3], 0xc
	v_mov_b32_e32 v20, 0
	v_lshlrev_b32_e32 v22, 2, v1
	s_waitcnt lgkmcnt(0)
	s_bfe_u32 s2, s18, 0xa0006
	v_cmp_gt_u32_e64 s[2:3], s2, v0
	s_and_saveexec_b64 s[6:7], s[2:3]
	s_cbranch_execz .LBB0_4
; %bb.3:
	ds_read_b32 v20, v22
.LBB0_4:
	s_or_b64 exec, exec, s[6:7]
	s_waitcnt lgkmcnt(0)
	ds_bpermute_b32 v1, v14, v20
	v_cmp_eq_u32_e64 s[6:7], 0, v0
	s_waitcnt lgkmcnt(0)
	v_add_f32_e32 v1, v20, v1
	ds_bpermute_b32 v20, v15, v1
	s_waitcnt lgkmcnt(0)
	v_add_f32_e32 v1, v1, v20
	ds_bpermute_b32 v20, v16, v1
	;; [unrolled: 3-line block ×5, first 2 shown]
	v_cvt_f32_i32_e32 v20, s17
	s_and_saveexec_b64 s[10:11], s[6:7]
	s_cbranch_execz .LBB0_6
; %bb.5:
	s_waitcnt lgkmcnt(0)
	v_add_f32_e32 v0, v1, v23
	v_div_scale_f32 v1, s[12:13], v20, v20, v0
	v_rcp_f32_e32 v23, v1
	v_div_scale_f32 v24, vcc, v0, v20, v0
	v_fma_f32 v25, -v1, v23, 1.0
	v_fmac_f32_e32 v23, v25, v23
	v_mul_f32_e32 v25, v24, v23
	v_fma_f32 v26, -v1, v25, v24
	v_fmac_f32_e32 v25, v26, v23
	v_fma_f32 v1, -v1, v25, v24
	v_div_fmas_f32 v1, v1, v23, v25
	v_div_fixup_f32 v0, v1, v20, v0
	v_mov_b32_e32 v1, 0
	ds_write_b32 v1, v0 offset:68
.LBB0_6:
	s_or_b64 exec, exec, s[10:11]
	s_waitcnt lgkmcnt(0)
	v_mov_b32_e32 v23, 0
	s_barrier
	ds_read_b32 v24, v23 offset:68
	s_waitcnt lgkmcnt(0)
	v_pk_add_f32 v[0:1], v[6:7], v[24:25] op_sel_hi:[1,0] neg_lo:[0,1] neg_hi:[0,1]
	v_pk_add_f32 v[6:7], v[8:9], v[24:25] op_sel_hi:[1,0] neg_lo:[0,1] neg_hi:[0,1]
	v_pk_mul_f32 v[26:27], v[0:1], v[0:1]
	v_pk_mul_f32 v[28:29], v[6:7], v[6:7]
	v_pk_add_f32 v[8:9], v[10:11], v[24:25] op_sel_hi:[1,0] neg_lo:[0,1] neg_hi:[0,1]
	v_pk_mul_f32 v[30:31], v[8:9], v[8:9]
	v_pk_add_f32 v[10:11], v[12:13], v[24:25] op_sel_hi:[1,0] neg_lo:[0,1] neg_hi:[0,1]
	v_add_f32_e32 v24, v28, v29
	v_add_f32_e32 v25, v26, v27
	v_pk_mul_f32 v[12:13], v[10:11], v[10:11]
	v_add_f32_e32 v24, v25, v24
	v_add_f32_e32 v25, v30, v31
	;; [unrolled: 1-line block ×5, first 2 shown]
	ds_bpermute_b32 v13, v14, v12
	s_waitcnt lgkmcnt(0)
	v_add_f32_e32 v12, v12, v13
	ds_bpermute_b32 v13, v15, v12
	s_waitcnt lgkmcnt(0)
	v_add_f32_e32 v12, v12, v13
	;; [unrolled: 3-line block ×5, first 2 shown]
	ds_bpermute_b32 v13, v19, v12
	s_and_saveexec_b64 s[10:11], s[0:1]
	s_cbranch_execz .LBB0_8
; %bb.7:
	s_waitcnt lgkmcnt(0)
	v_add_f32_e32 v12, v12, v13
	ds_write_b32 v21, v12
.LBB0_8:
	s_or_b64 exec, exec, s[10:11]
	s_load_dwordx4 s[12:15], s[4:5], 0x18
	s_waitcnt lgkmcnt(0)
	s_barrier
	s_and_saveexec_b64 s[0:1], s[2:3]
	s_cbranch_execz .LBB0_10
; %bb.9:
	ds_read_b32 v23, v22
.LBB0_10:
	s_or_b64 exec, exec, s[0:1]
	s_waitcnt lgkmcnt(0)
	ds_bpermute_b32 v12, v14, v23
	s_and_b32 s2, s18, 0xffff
	s_waitcnt lgkmcnt(0)
	v_add_f32_e32 v12, v23, v12
	ds_bpermute_b32 v13, v15, v12
	s_waitcnt lgkmcnt(0)
	v_add_f32_e32 v12, v12, v13
	ds_bpermute_b32 v13, v16, v12
	;; [unrolled: 3-line block ×5, first 2 shown]
	s_and_saveexec_b64 s[0:1], s[6:7]
	s_cbranch_execz .LBB0_12
; %bb.11:
	s_waitcnt lgkmcnt(0)
	v_add_f32_e32 v12, v12, v13
	v_div_scale_f32 v13, s[4:5], v20, v20, v12
	v_rcp_f32_e32 v14, v13
	v_div_scale_f32 v15, vcc, v12, v20, v12
	s_mov_b32 s3, 0x800000
	v_fma_f32 v16, -v13, v14, 1.0
	v_fmac_f32_e32 v14, v16, v14
	v_mul_f32_e32 v16, v15, v14
	v_fma_f32 v17, -v13, v16, v15
	v_fmac_f32_e32 v16, v17, v14
	v_fma_f32 v13, -v13, v16, v15
	v_div_fmas_f32 v13, v13, v14, v16
	v_div_fixup_f32 v12, v13, v20, v12
	v_add_f32_e32 v12, s16, v12
	v_mul_f32_e32 v13, 0x4b800000, v12
	v_cmp_gt_f32_e32 vcc, s3, v12
	v_cndmask_b32_e32 v12, v12, v13, vcc
	v_rsq_f32_e32 v12, v12
	v_mul_f32_e32 v13, 0x45800000, v12
	v_cndmask_b32_e32 v12, v12, v13, vcc
	v_mov_b32_e32 v13, 0
	ds_write_b32 v13, v12 offset:64
.LBB0_12:
	s_or_b64 exec, exec, s[0:1]
	v_mov_b32_e32 v12, s13
	v_add_co_u32_e32 v16, vcc, s12, v5
	v_addc_co_u32_e32 v17, vcc, 0, v12, vcc
	v_mov_b32_e32 v12, s15
	v_add_co_u32_e32 v20, vcc, s14, v5
	v_addc_co_u32_e32 v21, vcc, 0, v12, vcc
	s_lshl_b32 s0, s2, 3
	v_add_co_u32_e32 v16, vcc, s0, v16
	v_addc_co_u32_e32 v17, vcc, 0, v17, vcc
	v_add_co_u32_e32 v20, vcc, s0, v20
	v_addc_co_u32_e32 v21, vcc, 0, v21, vcc
	s_waitcnt lgkmcnt(0)
	s_barrier
	global_load_dwordx2 v[12:13], v5, s[12:13]
	global_load_dwordx2 v[14:15], v5, s[14:15]
	global_load_dwordx2 v[18:19], v[16:17], off
	v_add_co_u32_e32 v16, vcc, s0, v16
	v_addc_co_u32_e32 v17, vcc, 0, v17, vcc
	global_load_dwordx2 v[22:23], v[20:21], off
	v_add_co_u32_e32 v20, vcc, s0, v20
	v_addc_co_u32_e32 v21, vcc, 0, v21, vcc
	;; [unrolled: 3-line block ×3, first 2 shown]
	global_load_dwordx2 v[26:27], v[20:21], off
	v_add_co_u32_e32 v20, vcc, s0, v20
	global_load_dwordx2 v[16:17], v[16:17], off
	v_addc_co_u32_e32 v21, vcc, 0, v21, vcc
	global_load_dwordx2 v[20:21], v[20:21], off
	v_mov_b32_e32 v5, 0
	ds_read_b32 v28, v5 offset:64
	v_add_u32_e32 v4, s2, v4
	v_mov_b32_e32 v29, s9
	v_ashrrev_i32_e32 v5, 31, v4
	v_add_u32_e32 v30, s2, v4
	s_waitcnt lgkmcnt(0)
	v_pk_mul_f32 v[0:1], v[28:29], v[0:1] op_sel_hi:[0,1]
	v_lshlrev_b64 v[4:5], 3, v[4:5]
	v_ashrrev_i32_e32 v31, 31, v30
	v_add_co_u32_e32 v4, vcc, s8, v4
	v_pk_mul_f32 v[6:7], v[28:29], v[6:7] op_sel_hi:[0,1]
	v_add_u32_e32 v32, s2, v30
	v_addc_co_u32_e32 v5, vcc, v29, v5, vcc
	v_lshlrev_b64 v[30:31], 3, v[30:31]
	v_pk_mul_f32 v[8:9], v[28:29], v[8:9] op_sel_hi:[0,1]
	v_ashrrev_i32_e32 v33, 31, v32
	v_add_co_u32_e32 v30, vcc, s8, v30
	v_pk_mul_f32 v[10:11], v[28:29], v[10:11] op_sel_hi:[0,1]
	v_addc_co_u32_e32 v31, vcc, v29, v31, vcc
	v_lshlrev_b64 v[32:33], 3, v[32:33]
	s_waitcnt vmcnt(7)
	v_pk_mul_f32 v[0:1], v[0:1], v[12:13]
	s_waitcnt vmcnt(6)
	v_pk_add_f32 v[0:1], v[14:15], v[0:1]
	global_store_dwordx2 v[2:3], v[0:1], off
	s_waitcnt vmcnt(6)
	v_pk_mul_f32 v[0:1], v[6:7], v[18:19]
	s_waitcnt vmcnt(5)
	v_pk_add_f32 v[0:1], v[22:23], v[0:1]
	global_store_dwordx2 v[4:5], v[0:1], off
	;; [unrolled: 5-line block ×3, first 2 shown]
	s_waitcnt vmcnt(4)
	v_pk_mul_f32 v[2:3], v[10:11], v[16:17]
	s_waitcnt vmcnt(3)
	v_pk_add_f32 v[0:1], v[20:21], v[2:3]
	v_add_co_u32_e32 v2, vcc, s8, v32
	v_addc_co_u32_e32 v3, vcc, v29, v33, vcc
	global_store_dwordx2 v[2:3], v[0:1], off
	s_endpgm
	.section	.rodata,"a",@progbits
	.p2align	6, 0x0
	.amdhsa_kernel _Z30addBiasResidualPostLayerNormV2IfLi64EEvPT_PKS0_S3_S3_S3_fi
		.amdhsa_group_segment_fixed_size 72
		.amdhsa_private_segment_fixed_size 0
		.amdhsa_kernarg_size 304
		.amdhsa_user_sgpr_count 6
		.amdhsa_user_sgpr_private_segment_buffer 1
		.amdhsa_user_sgpr_dispatch_ptr 0
		.amdhsa_user_sgpr_queue_ptr 0
		.amdhsa_user_sgpr_kernarg_segment_ptr 1
		.amdhsa_user_sgpr_dispatch_id 0
		.amdhsa_user_sgpr_flat_scratch_init 0
		.amdhsa_user_sgpr_kernarg_preload_length 0
		.amdhsa_user_sgpr_kernarg_preload_offset 0
		.amdhsa_user_sgpr_private_segment_size 0
		.amdhsa_uses_dynamic_stack 0
		.amdhsa_system_sgpr_private_segment_wavefront_offset 0
		.amdhsa_system_sgpr_workgroup_id_x 1
		.amdhsa_system_sgpr_workgroup_id_y 0
		.amdhsa_system_sgpr_workgroup_id_z 0
		.amdhsa_system_sgpr_workgroup_info 0
		.amdhsa_system_vgpr_workitem_id 0
		.amdhsa_next_free_vgpr 34
		.amdhsa_next_free_sgpr 19
		.amdhsa_accum_offset 36
		.amdhsa_reserve_vcc 1
		.amdhsa_reserve_flat_scratch 0
		.amdhsa_float_round_mode_32 0
		.amdhsa_float_round_mode_16_64 0
		.amdhsa_float_denorm_mode_32 3
		.amdhsa_float_denorm_mode_16_64 3
		.amdhsa_dx10_clamp 1
		.amdhsa_ieee_mode 1
		.amdhsa_fp16_overflow 0
		.amdhsa_tg_split 0
		.amdhsa_exception_fp_ieee_invalid_op 0
		.amdhsa_exception_fp_denorm_src 0
		.amdhsa_exception_fp_ieee_div_zero 0
		.amdhsa_exception_fp_ieee_overflow 0
		.amdhsa_exception_fp_ieee_underflow 0
		.amdhsa_exception_fp_ieee_inexact 0
		.amdhsa_exception_int_div_zero 0
	.end_amdhsa_kernel
	.section	.text._Z30addBiasResidualPostLayerNormV2IfLi64EEvPT_PKS0_S3_S3_S3_fi,"axG",@progbits,_Z30addBiasResidualPostLayerNormV2IfLi64EEvPT_PKS0_S3_S3_S3_fi,comdat
.Lfunc_end0:
	.size	_Z30addBiasResidualPostLayerNormV2IfLi64EEvPT_PKS0_S3_S3_S3_fi, .Lfunc_end0-_Z30addBiasResidualPostLayerNormV2IfLi64EEvPT_PKS0_S3_S3_S3_fi
                                        ; -- End function
	.section	.AMDGPU.csdata,"",@progbits
; Kernel info:
; codeLenInByte = 1912
; NumSgprs: 23
; NumVgprs: 34
; NumAgprs: 0
; TotalNumVgprs: 34
; ScratchSize: 0
; MemoryBound: 0
; FloatMode: 240
; IeeeMode: 1
; LDSByteSize: 72 bytes/workgroup (compile time only)
; SGPRBlocks: 2
; VGPRBlocks: 4
; NumSGPRsForWavesPerEU: 23
; NumVGPRsForWavesPerEU: 34
; AccumOffset: 36
; Occupancy: 8
; WaveLimiterHint : 0
; COMPUTE_PGM_RSRC2:SCRATCH_EN: 0
; COMPUTE_PGM_RSRC2:USER_SGPR: 6
; COMPUTE_PGM_RSRC2:TRAP_HANDLER: 0
; COMPUTE_PGM_RSRC2:TGID_X_EN: 1
; COMPUTE_PGM_RSRC2:TGID_Y_EN: 0
; COMPUTE_PGM_RSRC2:TGID_Z_EN: 0
; COMPUTE_PGM_RSRC2:TIDIG_COMP_CNT: 0
; COMPUTE_PGM_RSRC3_GFX90A:ACCUM_OFFSET: 8
; COMPUTE_PGM_RSRC3_GFX90A:TG_SPLIT: 0
	.section	.text._Z30addBiasResidualPostLayerNormV2IfLi32EEvPT_PKS0_S3_S3_S3_fi,"axG",@progbits,_Z30addBiasResidualPostLayerNormV2IfLi32EEvPT_PKS0_S3_S3_S3_fi,comdat
	.protected	_Z30addBiasResidualPostLayerNormV2IfLi32EEvPT_PKS0_S3_S3_S3_fi ; -- Begin function _Z30addBiasResidualPostLayerNormV2IfLi32EEvPT_PKS0_S3_S3_S3_fi
	.globl	_Z30addBiasResidualPostLayerNormV2IfLi32EEvPT_PKS0_S3_S3_S3_fi
	.p2align	8
	.type	_Z30addBiasResidualPostLayerNormV2IfLi32EEvPT_PKS0_S3_S3_S3_fi,@function
_Z30addBiasResidualPostLayerNormV2IfLi32EEvPT_PKS0_S3_S3_S3_fi: ; @_Z30addBiasResidualPostLayerNormV2IfLi32EEvPT_PKS0_S3_S3_S3_fi
; %bb.0:
	s_load_dwordx2 s[16:17], s[4:5], 0x28
	s_load_dword s7, s[4:5], 0x3c
	s_load_dwordx4 s[8:11], s[4:5], 0x0
	s_load_dwordx2 s[0:1], s[4:5], 0x10
	s_add_u32 s2, s4, 48
	s_waitcnt lgkmcnt(0)
	s_mul_i32 s6, s6, s17
	s_addc_u32 s3, s5, 0
	s_lshr_b32 s12, s6, 31
	s_add_i32 s6, s6, s12
	s_ashr_i32 s6, s6, 1
	v_add_u32_e32 v4, s6, v0
	v_ashrrev_i32_e32 v5, 31, v4
	v_lshlrev_b64 v[6:7], 3, v[4:5]
	v_mov_b32_e32 v1, s9
	v_add_co_u32_e32 v2, vcc, s8, v6
	v_addc_co_u32_e32 v3, vcc, v1, v7, vcc
	s_and_b32 s7, s7, 0xffff
	v_mov_b32_e32 v30, s11
	v_add_co_u32_e32 v6, vcc, s10, v6
	v_addc_co_u32_e32 v7, vcc, v30, v7, vcc
	v_lshlrev_b32_e32 v5, 3, v0
	v_add_u32_e32 v12, s7, v4
	v_mov_b32_e32 v10, s1
	v_add_co_u32_e32 v18, vcc, s0, v5
	v_ashrrev_i32_e32 v13, 31, v12
	v_addc_co_u32_e32 v19, vcc, 0, v10, vcc
	v_lshlrev_b64 v[14:15], 3, v[12:13]
	v_add_co_u32_e32 v16, vcc, s8, v14
	v_addc_co_u32_e32 v17, vcc, v1, v15, vcc
	v_add_co_u32_e32 v14, vcc, s10, v14
	global_load_dwordx2 v[10:11], v5, s[0:1]
	v_addc_co_u32_e32 v15, vcc, v30, v15, vcc
	s_lshl_b32 s0, s7, 3
	v_add_u32_e32 v12, s7, v12
	v_add_co_u32_e32 v18, vcc, s0, v18
	v_ashrrev_i32_e32 v13, 31, v12
	v_addc_co_u32_e32 v19, vcc, 0, v19, vcc
	v_lshlrev_b64 v[22:23], 3, v[12:13]
	v_add_co_u32_e32 v24, vcc, s8, v22
	v_addc_co_u32_e32 v25, vcc, v1, v23, vcc
	v_add_co_u32_e32 v22, vcc, s10, v22
	v_addc_co_u32_e32 v23, vcc, v30, v23, vcc
	v_add_u32_e32 v12, s7, v12
	global_load_dwordx2 v[20:21], v[18:19], off
	v_add_co_u32_e32 v18, vcc, s0, v18
	v_ashrrev_i32_e32 v13, 31, v12
	v_addc_co_u32_e32 v19, vcc, 0, v19, vcc
	v_lshlrev_b64 v[12:13], 3, v[12:13]
	v_add_co_u32_e32 v28, vcc, s8, v12
	v_addc_co_u32_e32 v29, vcc, v1, v13, vcc
	global_load_dwordx2 v[8:9], v[2:3], off
	v_add_co_u32_e32 v12, vcc, s10, v12
	global_load_dwordx2 v[6:7], v[6:7], off
	v_addc_co_u32_e32 v13, vcc, v30, v13, vcc
	global_load_dwordx2 v[12:13], v[12:13], off
	s_waitcnt vmcnt(1)
	v_pk_add_f32 v[6:7], v[8:9], v[6:7]
	global_load_dwordx2 v[16:17], v[16:17], off
	v_pk_add_f32 v[6:7], v[10:11], v[6:7]
	global_load_dwordx2 v[14:15], v[14:15], off
	v_pk_add_f32 v[10:11], v[6:7], 0 op_sel_hi:[1,0]
	global_load_dwordx2 v[24:25], v[24:25], off
	s_waitcnt vmcnt(1)
	v_pk_add_f32 v[8:9], v[16:17], v[14:15]
	global_load_dwordx2 v[28:29], v[28:29], off
	v_pk_add_f32 v[8:9], v[20:21], v[8:9]
	global_load_dwordx2 v[22:23], v[22:23], off
	;; [unrolled: 2-line block ×3, first 2 shown]
	v_add_co_u32_e32 v18, vcc, s0, v18
	v_addc_co_u32_e32 v19, vcc, 0, v19, vcc
	global_load_dwordx2 v[18:19], v[18:19], off
	s_waitcnt vmcnt(3)
	v_pk_add_f32 v[12:13], v[28:29], v[12:13]
	s_waitcnt vmcnt(2)
	v_pk_add_f32 v[14:15], v[24:25], v[22:23]
	;; [unrolled: 2-line block ×3, first 2 shown]
	v_pk_add_f32 v[14:15], v[10:11], v[16:17]
	s_waitcnt vmcnt(0)
	v_pk_add_f32 v[12:13], v[18:19], v[12:13]
	v_pk_add_f32 v[14:15], v[12:13], v[14:15]
	v_add_f32_e32 v1, v14, v15
	v_mbcnt_lo_u32_b32 v14, -1, 0
	v_mbcnt_hi_u32_b32 v18, -1, v14
	v_and_b32_e32 v14, 0x60, v18
	v_add_u32_e32 v20, 32, v14
	v_xor_b32_e32 v14, 16, v18
	v_cmp_lt_i32_e32 vcc, v14, v20
	v_cndmask_b32_e32 v14, v18, v14, vcc
	v_lshlrev_b32_e32 v14, 2, v14
	ds_bpermute_b32 v15, v14, v1
	s_waitcnt lgkmcnt(0)
	v_add_f32_e32 v1, v1, v15
	v_xor_b32_e32 v15, 8, v18
	v_cmp_lt_i32_e32 vcc, v15, v20
	v_cndmask_b32_e32 v15, v18, v15, vcc
	v_lshlrev_b32_e32 v15, 2, v15
	ds_bpermute_b32 v16, v15, v1
	s_waitcnt lgkmcnt(0)
	v_add_f32_e32 v1, v1, v16
	;; [unrolled: 7-line block ×4, first 2 shown]
	v_xor_b32_e32 v1, 1, v18
	v_cmp_lt_i32_e32 vcc, v1, v20
	v_cndmask_b32_e32 v1, v18, v1, vcc
	v_lshlrev_b32_e32 v18, 2, v1
	ds_bpermute_b32 v21, v18, v19
	v_and_b32_e32 v1, 31, v0
	v_cmp_eq_u32_e64 s[0:1], 0, v1
	v_lshrrev_b32_e32 v20, 3, v0
	s_and_saveexec_b64 s[6:7], s[0:1]
	s_cbranch_execz .LBB1_2
; %bb.1:
	s_waitcnt lgkmcnt(0)
	v_add_f32_e32 v19, v19, v21
	ds_write_b32 v20, v19
.LBB1_2:
	s_or_b64 exec, exec, s[6:7]
	s_waitcnt lgkmcnt(0)
	s_barrier
	s_load_dword s18, s[2:3], 0xc
	v_mov_b32_e32 v19, 0
	v_lshlrev_b32_e32 v21, 2, v1
	s_waitcnt lgkmcnt(0)
	s_bfe_u32 s2, s18, 0xb0005
	v_cmp_gt_u32_e64 s[2:3], s2, v0
	s_and_saveexec_b64 s[6:7], s[2:3]
	s_cbranch_execz .LBB1_4
; %bb.3:
	ds_read_b32 v19, v21
.LBB1_4:
	s_or_b64 exec, exec, s[6:7]
	s_waitcnt lgkmcnt(0)
	ds_bpermute_b32 v1, v14, v19
	v_cmp_eq_u32_e64 s[6:7], 0, v0
	s_waitcnt lgkmcnt(0)
	v_add_f32_e32 v1, v19, v1
	ds_bpermute_b32 v19, v15, v1
	s_waitcnt lgkmcnt(0)
	v_add_f32_e32 v1, v1, v19
	ds_bpermute_b32 v19, v16, v1
	;; [unrolled: 3-line block ×4, first 2 shown]
	v_cvt_f32_i32_e32 v19, s17
	s_and_saveexec_b64 s[10:11], s[6:7]
	s_cbranch_execz .LBB1_6
; %bb.5:
	s_waitcnt lgkmcnt(0)
	v_add_f32_e32 v0, v1, v22
	v_div_scale_f32 v1, s[12:13], v19, v19, v0
	v_rcp_f32_e32 v22, v1
	v_div_scale_f32 v23, vcc, v0, v19, v0
	v_fma_f32 v24, -v1, v22, 1.0
	v_fmac_f32_e32 v22, v24, v22
	v_mul_f32_e32 v24, v23, v22
	v_fma_f32 v25, -v1, v24, v23
	v_fmac_f32_e32 v24, v25, v22
	v_fma_f32 v1, -v1, v24, v23
	v_div_fmas_f32 v1, v1, v22, v24
	v_div_fixup_f32 v0, v1, v19, v0
	v_mov_b32_e32 v1, 0
	ds_write_b32 v1, v0 offset:132
.LBB1_6:
	s_or_b64 exec, exec, s[10:11]
	s_waitcnt lgkmcnt(0)
	v_mov_b32_e32 v22, 0
	s_barrier
	ds_read_b32 v24, v22 offset:132
	s_waitcnt lgkmcnt(0)
	v_pk_add_f32 v[0:1], v[6:7], v[24:25] op_sel_hi:[1,0] neg_lo:[0,1] neg_hi:[0,1]
	v_pk_add_f32 v[6:7], v[8:9], v[24:25] op_sel_hi:[1,0] neg_lo:[0,1] neg_hi:[0,1]
	v_pk_mul_f32 v[26:27], v[0:1], v[0:1]
	v_pk_mul_f32 v[28:29], v[6:7], v[6:7]
	v_pk_add_f32 v[8:9], v[10:11], v[24:25] op_sel_hi:[1,0] neg_lo:[0,1] neg_hi:[0,1]
	v_pk_mul_f32 v[30:31], v[8:9], v[8:9]
	v_pk_add_f32 v[10:11], v[12:13], v[24:25] op_sel_hi:[1,0] neg_lo:[0,1] neg_hi:[0,1]
	v_add_f32_e32 v23, v28, v29
	v_add_f32_e32 v24, v26, v27
	v_pk_mul_f32 v[12:13], v[10:11], v[10:11]
	v_add_f32_e32 v23, v24, v23
	v_add_f32_e32 v24, v30, v31
	;; [unrolled: 1-line block ×5, first 2 shown]
	ds_bpermute_b32 v13, v14, v12
	s_waitcnt lgkmcnt(0)
	v_add_f32_e32 v12, v12, v13
	ds_bpermute_b32 v13, v15, v12
	s_waitcnt lgkmcnt(0)
	v_add_f32_e32 v12, v12, v13
	;; [unrolled: 3-line block ×4, first 2 shown]
	ds_bpermute_b32 v13, v18, v12
	s_and_saveexec_b64 s[10:11], s[0:1]
	s_cbranch_execz .LBB1_8
; %bb.7:
	s_waitcnt lgkmcnt(0)
	v_add_f32_e32 v12, v12, v13
	ds_write_b32 v20, v12
.LBB1_8:
	s_or_b64 exec, exec, s[10:11]
	s_load_dwordx4 s[12:15], s[4:5], 0x18
	s_waitcnt lgkmcnt(0)
	s_barrier
	s_and_saveexec_b64 s[0:1], s[2:3]
	s_cbranch_execz .LBB1_10
; %bb.9:
	ds_read_b32 v22, v21
.LBB1_10:
	s_or_b64 exec, exec, s[0:1]
	s_waitcnt lgkmcnt(0)
	ds_bpermute_b32 v12, v14, v22
	s_and_b32 s2, s18, 0xffff
	s_waitcnt lgkmcnt(0)
	v_add_f32_e32 v12, v22, v12
	ds_bpermute_b32 v13, v15, v12
	s_waitcnt lgkmcnt(0)
	v_add_f32_e32 v12, v12, v13
	ds_bpermute_b32 v13, v16, v12
	;; [unrolled: 3-line block ×4, first 2 shown]
	s_and_saveexec_b64 s[0:1], s[6:7]
	s_cbranch_execz .LBB1_12
; %bb.11:
	s_waitcnt lgkmcnt(0)
	v_add_f32_e32 v12, v12, v13
	v_div_scale_f32 v13, s[4:5], v19, v19, v12
	v_rcp_f32_e32 v14, v13
	v_div_scale_f32 v15, vcc, v12, v19, v12
	s_mov_b32 s3, 0x800000
	v_fma_f32 v16, -v13, v14, 1.0
	v_fmac_f32_e32 v14, v16, v14
	v_mul_f32_e32 v16, v15, v14
	v_fma_f32 v17, -v13, v16, v15
	v_fmac_f32_e32 v16, v17, v14
	v_fma_f32 v13, -v13, v16, v15
	v_div_fmas_f32 v13, v13, v14, v16
	v_div_fixup_f32 v12, v13, v19, v12
	v_add_f32_e32 v12, s16, v12
	v_mul_f32_e32 v13, 0x4b800000, v12
	v_cmp_gt_f32_e32 vcc, s3, v12
	v_cndmask_b32_e32 v12, v12, v13, vcc
	v_rsq_f32_e32 v12, v12
	v_mul_f32_e32 v13, 0x45800000, v12
	v_cndmask_b32_e32 v12, v12, v13, vcc
	v_mov_b32_e32 v13, 0
	ds_write_b32 v13, v12 offset:128
.LBB1_12:
	s_or_b64 exec, exec, s[0:1]
	v_mov_b32_e32 v12, s13
	v_add_co_u32_e32 v16, vcc, s12, v5
	v_addc_co_u32_e32 v17, vcc, 0, v12, vcc
	v_mov_b32_e32 v12, s15
	v_add_co_u32_e32 v20, vcc, s14, v5
	v_addc_co_u32_e32 v21, vcc, 0, v12, vcc
	s_lshl_b32 s0, s2, 3
	v_add_co_u32_e32 v16, vcc, s0, v16
	v_addc_co_u32_e32 v17, vcc, 0, v17, vcc
	v_add_co_u32_e32 v20, vcc, s0, v20
	v_addc_co_u32_e32 v21, vcc, 0, v21, vcc
	s_waitcnt lgkmcnt(0)
	s_barrier
	global_load_dwordx2 v[12:13], v5, s[12:13]
	global_load_dwordx2 v[14:15], v5, s[14:15]
	global_load_dwordx2 v[18:19], v[16:17], off
	v_add_co_u32_e32 v16, vcc, s0, v16
	v_addc_co_u32_e32 v17, vcc, 0, v17, vcc
	global_load_dwordx2 v[22:23], v[20:21], off
	v_add_co_u32_e32 v20, vcc, s0, v20
	v_addc_co_u32_e32 v21, vcc, 0, v21, vcc
	;; [unrolled: 3-line block ×3, first 2 shown]
	global_load_dwordx2 v[26:27], v[20:21], off
	v_add_co_u32_e32 v20, vcc, s0, v20
	global_load_dwordx2 v[16:17], v[16:17], off
	v_addc_co_u32_e32 v21, vcc, 0, v21, vcc
	global_load_dwordx2 v[20:21], v[20:21], off
	v_mov_b32_e32 v5, 0
	ds_read_b32 v28, v5 offset:128
	v_add_u32_e32 v4, s2, v4
	v_mov_b32_e32 v29, s9
	v_ashrrev_i32_e32 v5, 31, v4
	v_add_u32_e32 v30, s2, v4
	s_waitcnt lgkmcnt(0)
	v_pk_mul_f32 v[0:1], v[28:29], v[0:1] op_sel_hi:[0,1]
	v_lshlrev_b64 v[4:5], 3, v[4:5]
	v_ashrrev_i32_e32 v31, 31, v30
	v_add_co_u32_e32 v4, vcc, s8, v4
	v_pk_mul_f32 v[6:7], v[28:29], v[6:7] op_sel_hi:[0,1]
	v_add_u32_e32 v32, s2, v30
	v_addc_co_u32_e32 v5, vcc, v29, v5, vcc
	v_lshlrev_b64 v[30:31], 3, v[30:31]
	v_pk_mul_f32 v[8:9], v[28:29], v[8:9] op_sel_hi:[0,1]
	v_ashrrev_i32_e32 v33, 31, v32
	v_add_co_u32_e32 v30, vcc, s8, v30
	v_pk_mul_f32 v[10:11], v[28:29], v[10:11] op_sel_hi:[0,1]
	v_addc_co_u32_e32 v31, vcc, v29, v31, vcc
	v_lshlrev_b64 v[32:33], 3, v[32:33]
	s_waitcnt vmcnt(7)
	v_pk_mul_f32 v[0:1], v[0:1], v[12:13]
	s_waitcnt vmcnt(6)
	v_pk_add_f32 v[0:1], v[14:15], v[0:1]
	global_store_dwordx2 v[2:3], v[0:1], off
	s_waitcnt vmcnt(6)
	v_pk_mul_f32 v[0:1], v[6:7], v[18:19]
	s_waitcnt vmcnt(5)
	v_pk_add_f32 v[0:1], v[22:23], v[0:1]
	global_store_dwordx2 v[4:5], v[0:1], off
	;; [unrolled: 5-line block ×3, first 2 shown]
	s_waitcnt vmcnt(4)
	v_pk_mul_f32 v[2:3], v[10:11], v[16:17]
	s_waitcnt vmcnt(3)
	v_pk_add_f32 v[0:1], v[20:21], v[2:3]
	v_add_co_u32_e32 v2, vcc, s8, v32
	v_addc_co_u32_e32 v3, vcc, v29, v33, vcc
	global_store_dwordx2 v[2:3], v[0:1], off
	s_endpgm
	.section	.rodata,"a",@progbits
	.p2align	6, 0x0
	.amdhsa_kernel _Z30addBiasResidualPostLayerNormV2IfLi32EEvPT_PKS0_S3_S3_S3_fi
		.amdhsa_group_segment_fixed_size 136
		.amdhsa_private_segment_fixed_size 0
		.amdhsa_kernarg_size 304
		.amdhsa_user_sgpr_count 6
		.amdhsa_user_sgpr_private_segment_buffer 1
		.amdhsa_user_sgpr_dispatch_ptr 0
		.amdhsa_user_sgpr_queue_ptr 0
		.amdhsa_user_sgpr_kernarg_segment_ptr 1
		.amdhsa_user_sgpr_dispatch_id 0
		.amdhsa_user_sgpr_flat_scratch_init 0
		.amdhsa_user_sgpr_kernarg_preload_length 0
		.amdhsa_user_sgpr_kernarg_preload_offset 0
		.amdhsa_user_sgpr_private_segment_size 0
		.amdhsa_uses_dynamic_stack 0
		.amdhsa_system_sgpr_private_segment_wavefront_offset 0
		.amdhsa_system_sgpr_workgroup_id_x 1
		.amdhsa_system_sgpr_workgroup_id_y 0
		.amdhsa_system_sgpr_workgroup_id_z 0
		.amdhsa_system_sgpr_workgroup_info 0
		.amdhsa_system_vgpr_workitem_id 0
		.amdhsa_next_free_vgpr 34
		.amdhsa_next_free_sgpr 19
		.amdhsa_accum_offset 36
		.amdhsa_reserve_vcc 1
		.amdhsa_reserve_flat_scratch 0
		.amdhsa_float_round_mode_32 0
		.amdhsa_float_round_mode_16_64 0
		.amdhsa_float_denorm_mode_32 3
		.amdhsa_float_denorm_mode_16_64 3
		.amdhsa_dx10_clamp 1
		.amdhsa_ieee_mode 1
		.amdhsa_fp16_overflow 0
		.amdhsa_tg_split 0
		.amdhsa_exception_fp_ieee_invalid_op 0
		.amdhsa_exception_fp_denorm_src 0
		.amdhsa_exception_fp_ieee_div_zero 0
		.amdhsa_exception_fp_ieee_overflow 0
		.amdhsa_exception_fp_ieee_underflow 0
		.amdhsa_exception_fp_ieee_inexact 0
		.amdhsa_exception_int_div_zero 0
	.end_amdhsa_kernel
	.section	.text._Z30addBiasResidualPostLayerNormV2IfLi32EEvPT_PKS0_S3_S3_S3_fi,"axG",@progbits,_Z30addBiasResidualPostLayerNormV2IfLi32EEvPT_PKS0_S3_S3_S3_fi,comdat
.Lfunc_end1:
	.size	_Z30addBiasResidualPostLayerNormV2IfLi32EEvPT_PKS0_S3_S3_S3_fi, .Lfunc_end1-_Z30addBiasResidualPostLayerNormV2IfLi32EEvPT_PKS0_S3_S3_S3_fi
                                        ; -- End function
	.section	.AMDGPU.csdata,"",@progbits
; Kernel info:
; codeLenInByte = 1836
; NumSgprs: 23
; NumVgprs: 34
; NumAgprs: 0
; TotalNumVgprs: 34
; ScratchSize: 0
; MemoryBound: 0
; FloatMode: 240
; IeeeMode: 1
; LDSByteSize: 136 bytes/workgroup (compile time only)
; SGPRBlocks: 2
; VGPRBlocks: 4
; NumSGPRsForWavesPerEU: 23
; NumVGPRsForWavesPerEU: 34
; AccumOffset: 36
; Occupancy: 8
; WaveLimiterHint : 0
; COMPUTE_PGM_RSRC2:SCRATCH_EN: 0
; COMPUTE_PGM_RSRC2:USER_SGPR: 6
; COMPUTE_PGM_RSRC2:TRAP_HANDLER: 0
; COMPUTE_PGM_RSRC2:TGID_X_EN: 1
; COMPUTE_PGM_RSRC2:TGID_Y_EN: 0
; COMPUTE_PGM_RSRC2:TGID_Z_EN: 0
; COMPUTE_PGM_RSRC2:TIDIG_COMP_CNT: 0
; COMPUTE_PGM_RSRC3_GFX90A:ACCUM_OFFSET: 8
; COMPUTE_PGM_RSRC3_GFX90A:TG_SPLIT: 0
	.section	.text._Z28addBiasResidualPostLayerNormIfLi1ELi64EEvPT_PKS0_S3_S3_S3_fi,"axG",@progbits,_Z28addBiasResidualPostLayerNormIfLi1ELi64EEvPT_PKS0_S3_S3_S3_fi,comdat
	.protected	_Z28addBiasResidualPostLayerNormIfLi1ELi64EEvPT_PKS0_S3_S3_S3_fi ; -- Begin function _Z28addBiasResidualPostLayerNormIfLi1ELi64EEvPT_PKS0_S3_S3_S3_fi
	.globl	_Z28addBiasResidualPostLayerNormIfLi1ELi64EEvPT_PKS0_S3_S3_S3_fi
	.p2align	8
	.type	_Z28addBiasResidualPostLayerNormIfLi1ELi64EEvPT_PKS0_S3_S3_S3_fi,@function
_Z28addBiasResidualPostLayerNormIfLi1ELi64EEvPT_PKS0_S3_S3_S3_fi: ; @_Z28addBiasResidualPostLayerNormIfLi1ELi64EEvPT_PKS0_S3_S3_S3_fi
; %bb.0:
	s_load_dwordx2 s[12:13], s[4:5], 0x28
	s_load_dwordx2 s[10:11], s[4:5], 0x0
	v_mov_b32_e32 v5, 0
	v_lshlrev_b32_e32 v1, 2, v0
                                        ; implicit-def: $vgpr4
	s_waitcnt lgkmcnt(0)
	s_mul_i32 s6, s6, s13
	v_cmp_gt_i32_e64 s[0:1], s13, v0
	v_add_u32_e32 v2, s6, v0
	s_and_saveexec_b64 s[2:3], s[0:1]
	s_cbranch_execz .LBB2_2
; %bb.1:
	s_load_dwordx4 s[16:19], s[4:5], 0x8
	v_mov_b32_e32 v3, 0
	v_lshlrev_b64 v[4:5], 2, v[2:3]
	v_mov_b32_e32 v3, s11
	v_add_co_u32_e32 v6, vcc, s10, v4
	v_addc_co_u32_e32 v7, vcc, v3, v5, vcc
	global_load_dword v3, v[6:7], off
	s_waitcnt lgkmcnt(0)
	v_mov_b32_e32 v6, s17
	v_add_co_u32_e32 v4, vcc, s16, v4
	v_addc_co_u32_e32 v5, vcc, v6, v5, vcc
	global_load_dword v6, v[4:5], off
	global_load_dword v7, v1, s[18:19]
	s_waitcnt vmcnt(1)
	v_add_f32_e32 v3, v3, v6
	s_waitcnt vmcnt(0)
	v_add_f32_e32 v4, v3, v7
	v_add_f32_e32 v5, 0, v4
.LBB2_2:
	s_or_b64 exec, exec, s[2:3]
	v_mbcnt_lo_u32_b32 v3, -1, 0
	v_mbcnt_hi_u32_b32 v9, -1, v3
	v_and_b32_e32 v3, 64, v9
	v_add_u32_e32 v10, 64, v3
	v_xor_b32_e32 v3, 32, v9
	v_cmp_lt_i32_e32 vcc, v3, v10
	v_cndmask_b32_e32 v3, v9, v3, vcc
	v_lshlrev_b32_e32 v3, 2, v3
	ds_bpermute_b32 v6, v3, v5
	v_xor_b32_e32 v7, 16, v9
	v_cmp_lt_i32_e32 vcc, v7, v10
	v_xor_b32_e32 v8, 8, v9
	v_xor_b32_e32 v11, 4, v9
	s_waitcnt lgkmcnt(0)
	v_add_f32_e32 v6, v5, v6
	v_cndmask_b32_e32 v5, v9, v7, vcc
	v_lshlrev_b32_e32 v5, 2, v5
	ds_bpermute_b32 v7, v5, v6
	v_cmp_lt_i32_e32 vcc, v8, v10
	v_xor_b32_e32 v12, 2, v9
	v_xor_b32_e32 v13, 1, v9
	s_waitcnt lgkmcnt(0)
	v_add_f32_e32 v7, v6, v7
	v_cndmask_b32_e32 v6, v9, v8, vcc
	v_lshlrev_b32_e32 v6, 2, v6
	ds_bpermute_b32 v8, v6, v7
	v_cmp_lt_i32_e32 vcc, v11, v10
	s_waitcnt lgkmcnt(0)
	v_add_f32_e32 v8, v7, v8
	v_cndmask_b32_e32 v7, v9, v11, vcc
	v_lshlrev_b32_e32 v7, 2, v7
	ds_bpermute_b32 v11, v7, v8
	v_cmp_lt_i32_e32 vcc, v12, v10
	;; [unrolled: 6-line block ×3, first 2 shown]
	v_cndmask_b32_e32 v9, v9, v13, vcc
	v_lshlrev_b32_e32 v9, 2, v9
	v_and_b32_e32 v10, 63, v0
	s_waitcnt lgkmcnt(0)
	v_add_f32_e32 v12, v11, v12
	ds_bpermute_b32 v13, v9, v12
	v_cmp_eq_u32_e64 s[2:3], 0, v10
	v_lshrrev_b32_e32 v11, 4, v0
	s_and_saveexec_b64 s[6:7], s[2:3]
	s_cbranch_execz .LBB2_4
; %bb.3:
	s_waitcnt lgkmcnt(0)
	v_add_f32_e32 v12, v12, v13
	ds_write_b32 v11, v12
.LBB2_4:
	s_or_b64 exec, exec, s[6:7]
	s_waitcnt lgkmcnt(0)
	s_barrier
	s_load_dword s6, s[4:5], 0x3c
	v_mov_b32_e32 v13, 0
	v_lshlrev_b32_e32 v12, 2, v10
	s_waitcnt lgkmcnt(0)
	s_bfe_u32 s6, s6, 0xa0006
	v_cmp_gt_u32_e64 s[6:7], s6, v0
	s_and_saveexec_b64 s[8:9], s[6:7]
	s_cbranch_execz .LBB2_6
; %bb.5:
	ds_read_b32 v13, v12
.LBB2_6:
	s_or_b64 exec, exec, s[8:9]
	s_waitcnt lgkmcnt(0)
	ds_bpermute_b32 v10, v3, v13
	v_cmp_eq_u32_e64 s[8:9], 0, v0
	s_waitcnt lgkmcnt(0)
	v_add_f32_e32 v10, v13, v10
	ds_bpermute_b32 v13, v5, v10
	s_waitcnt lgkmcnt(0)
	v_add_f32_e32 v10, v10, v13
	ds_bpermute_b32 v13, v6, v10
	;; [unrolled: 3-line block ×5, first 2 shown]
	v_cvt_f32_i32_e32 v10, s13
	s_and_saveexec_b64 s[14:15], s[8:9]
	s_cbranch_execz .LBB2_8
; %bb.7:
	s_waitcnt lgkmcnt(0)
	v_add_f32_e32 v0, v13, v14
	v_div_scale_f32 v13, s[16:17], v10, v10, v0
	v_rcp_f32_e32 v14, v13
	v_div_scale_f32 v15, vcc, v0, v10, v0
	v_fma_f32 v16, -v13, v14, 1.0
	v_fmac_f32_e32 v14, v16, v14
	v_mul_f32_e32 v16, v15, v14
	v_fma_f32 v17, -v13, v16, v15
	v_fmac_f32_e32 v16, v17, v14
	v_fma_f32 v13, -v13, v16, v15
	v_div_fmas_f32 v13, v13, v14, v16
	v_div_fixup_f32 v0, v13, v10, v0
	v_mov_b32_e32 v13, 0
	ds_write_b32 v13, v0 offset:68
.LBB2_8:
	s_or_b64 exec, exec, s[14:15]
	v_mov_b32_e32 v0, 0
	s_waitcnt lgkmcnt(0)
	s_barrier
	ds_read_b32 v13, v0 offset:68
	s_waitcnt lgkmcnt(0)
	v_sub_f32_e32 v13, v4, v13
	v_mul_f32_e32 v13, v13, v13
	v_cndmask_b32_e64 v13, 0, v13, s[0:1]
	ds_bpermute_b32 v14, v3, v13
	s_waitcnt lgkmcnt(0)
	v_add_f32_e32 v13, v13, v14
	ds_bpermute_b32 v14, v5, v13
	s_waitcnt lgkmcnt(0)
	v_add_f32_e32 v13, v13, v14
	;; [unrolled: 3-line block ×5, first 2 shown]
	ds_bpermute_b32 v14, v9, v13
	s_and_saveexec_b64 s[14:15], s[2:3]
	s_cbranch_execz .LBB2_10
; %bb.9:
	s_waitcnt lgkmcnt(0)
	v_add_f32_e32 v13, v13, v14
	ds_write_b32 v11, v13
.LBB2_10:
	s_or_b64 exec, exec, s[14:15]
	s_waitcnt lgkmcnt(0)
	s_barrier
	s_and_saveexec_b64 s[2:3], s[6:7]
	s_cbranch_execz .LBB2_12
; %bb.11:
	ds_read_b32 v0, v12
.LBB2_12:
	s_or_b64 exec, exec, s[2:3]
	s_waitcnt lgkmcnt(0)
	ds_bpermute_b32 v3, v3, v0
	s_waitcnt lgkmcnt(0)
	v_add_f32_e32 v0, v0, v3
	ds_bpermute_b32 v3, v5, v0
	s_waitcnt lgkmcnt(0)
	v_add_f32_e32 v0, v0, v3
	;; [unrolled: 3-line block ×5, first 2 shown]
	ds_bpermute_b32 v3, v9, v0
	s_and_saveexec_b64 s[2:3], s[8:9]
	s_cbranch_execz .LBB2_14
; %bb.13:
	s_waitcnt lgkmcnt(0)
	v_add_f32_e32 v0, v0, v3
	v_div_scale_f32 v3, s[6:7], v10, v10, v0
	v_rcp_f32_e32 v5, v3
	v_div_scale_f32 v6, vcc, v0, v10, v0
	v_fma_f32 v7, -v3, v5, 1.0
	v_fmac_f32_e32 v5, v7, v5
	v_mul_f32_e32 v7, v6, v5
	v_fma_f32 v8, -v3, v7, v6
	v_fmac_f32_e32 v7, v8, v5
	v_fma_f32 v3, -v3, v7, v6
	v_div_fmas_f32 v3, v3, v5, v7
	v_div_fixup_f32 v0, v3, v10, v0
	v_add_f32_e32 v0, s12, v0
	v_mov_b32_e32 v3, 0
	ds_write_b32 v3, v0 offset:64
.LBB2_14:
	s_or_b64 exec, exec, s[2:3]
	s_waitcnt lgkmcnt(0)
	s_barrier
	s_and_saveexec_b64 s[2:3], s[0:1]
	s_cbranch_execz .LBB2_16
; %bb.15:
	s_load_dwordx4 s[0:3], s[4:5], 0x18
	v_mov_b32_e32 v3, 0
	s_waitcnt lgkmcnt(0)
	global_load_dword v5, v1, s[0:1]
	global_load_dword v6, v1, s[2:3]
	ds_read_b64 v[0:1], v3 offset:64
	s_mov_b32 s0, 0x800000
	v_lshlrev_b64 v[2:3], 2, v[2:3]
	s_waitcnt lgkmcnt(0)
	v_mul_f32_e32 v7, 0x4b800000, v0
	v_cmp_gt_f32_e32 vcc, s0, v0
	v_cndmask_b32_e32 v0, v0, v7, vcc
	v_rsq_f32_e32 v0, v0
	v_sub_f32_e32 v1, v4, v1
	v_mov_b32_e32 v7, s11
	v_mul_f32_e32 v4, 0x45800000, v0
	v_cndmask_b32_e32 v0, v0, v4, vcc
	v_mul_f32_e32 v0, v1, v0
	s_waitcnt vmcnt(0)
	v_fmac_f32_e32 v6, v5, v0
	v_add_co_u32_e32 v0, vcc, s10, v2
	v_addc_co_u32_e32 v1, vcc, v7, v3, vcc
	global_store_dword v[0:1], v6, off
.LBB2_16:
	s_endpgm
	.section	.rodata,"a",@progbits
	.p2align	6, 0x0
	.amdhsa_kernel _Z28addBiasResidualPostLayerNormIfLi1ELi64EEvPT_PKS0_S3_S3_S3_fi
		.amdhsa_group_segment_fixed_size 72
		.amdhsa_private_segment_fixed_size 0
		.amdhsa_kernarg_size 304
		.amdhsa_user_sgpr_count 6
		.amdhsa_user_sgpr_private_segment_buffer 1
		.amdhsa_user_sgpr_dispatch_ptr 0
		.amdhsa_user_sgpr_queue_ptr 0
		.amdhsa_user_sgpr_kernarg_segment_ptr 1
		.amdhsa_user_sgpr_dispatch_id 0
		.amdhsa_user_sgpr_flat_scratch_init 0
		.amdhsa_user_sgpr_kernarg_preload_length 0
		.amdhsa_user_sgpr_kernarg_preload_offset 0
		.amdhsa_user_sgpr_private_segment_size 0
		.amdhsa_uses_dynamic_stack 0
		.amdhsa_system_sgpr_private_segment_wavefront_offset 0
		.amdhsa_system_sgpr_workgroup_id_x 1
		.amdhsa_system_sgpr_workgroup_id_y 0
		.amdhsa_system_sgpr_workgroup_id_z 0
		.amdhsa_system_sgpr_workgroup_info 0
		.amdhsa_system_vgpr_workitem_id 0
		.amdhsa_next_free_vgpr 18
		.amdhsa_next_free_sgpr 20
		.amdhsa_accum_offset 20
		.amdhsa_reserve_vcc 1
		.amdhsa_reserve_flat_scratch 0
		.amdhsa_float_round_mode_32 0
		.amdhsa_float_round_mode_16_64 0
		.amdhsa_float_denorm_mode_32 3
		.amdhsa_float_denorm_mode_16_64 3
		.amdhsa_dx10_clamp 1
		.amdhsa_ieee_mode 1
		.amdhsa_fp16_overflow 0
		.amdhsa_tg_split 0
		.amdhsa_exception_fp_ieee_invalid_op 0
		.amdhsa_exception_fp_denorm_src 0
		.amdhsa_exception_fp_ieee_div_zero 0
		.amdhsa_exception_fp_ieee_overflow 0
		.amdhsa_exception_fp_ieee_underflow 0
		.amdhsa_exception_fp_ieee_inexact 0
		.amdhsa_exception_int_div_zero 0
	.end_amdhsa_kernel
	.section	.text._Z28addBiasResidualPostLayerNormIfLi1ELi64EEvPT_PKS0_S3_S3_S3_fi,"axG",@progbits,_Z28addBiasResidualPostLayerNormIfLi1ELi64EEvPT_PKS0_S3_S3_S3_fi,comdat
.Lfunc_end2:
	.size	_Z28addBiasResidualPostLayerNormIfLi1ELi64EEvPT_PKS0_S3_S3_S3_fi, .Lfunc_end2-_Z28addBiasResidualPostLayerNormIfLi1ELi64EEvPT_PKS0_S3_S3_S3_fi
                                        ; -- End function
	.section	.AMDGPU.csdata,"",@progbits
; Kernel info:
; codeLenInByte = 1204
; NumSgprs: 24
; NumVgprs: 18
; NumAgprs: 0
; TotalNumVgprs: 18
; ScratchSize: 0
; MemoryBound: 0
; FloatMode: 240
; IeeeMode: 1
; LDSByteSize: 72 bytes/workgroup (compile time only)
; SGPRBlocks: 2
; VGPRBlocks: 2
; NumSGPRsForWavesPerEU: 24
; NumVGPRsForWavesPerEU: 18
; AccumOffset: 20
; Occupancy: 8
; WaveLimiterHint : 0
; COMPUTE_PGM_RSRC2:SCRATCH_EN: 0
; COMPUTE_PGM_RSRC2:USER_SGPR: 6
; COMPUTE_PGM_RSRC2:TRAP_HANDLER: 0
; COMPUTE_PGM_RSRC2:TGID_X_EN: 1
; COMPUTE_PGM_RSRC2:TGID_Y_EN: 0
; COMPUTE_PGM_RSRC2:TGID_Z_EN: 0
; COMPUTE_PGM_RSRC2:TIDIG_COMP_CNT: 0
; COMPUTE_PGM_RSRC3_GFX90A:ACCUM_OFFSET: 4
; COMPUTE_PGM_RSRC3_GFX90A:TG_SPLIT: 0
	.section	.text._Z28addBiasResidualPostLayerNormIfLi2ELi64EEvPT_PKS0_S3_S3_S3_fi,"axG",@progbits,_Z28addBiasResidualPostLayerNormIfLi2ELi64EEvPT_PKS0_S3_S3_S3_fi,comdat
	.protected	_Z28addBiasResidualPostLayerNormIfLi2ELi64EEvPT_PKS0_S3_S3_S3_fi ; -- Begin function _Z28addBiasResidualPostLayerNormIfLi2ELi64EEvPT_PKS0_S3_S3_S3_fi
	.globl	_Z28addBiasResidualPostLayerNormIfLi2ELi64EEvPT_PKS0_S3_S3_S3_fi
	.p2align	8
	.type	_Z28addBiasResidualPostLayerNormIfLi2ELi64EEvPT_PKS0_S3_S3_S3_fi,@function
_Z28addBiasResidualPostLayerNormIfLi2ELi64EEvPT_PKS0_S3_S3_S3_fi: ; @_Z28addBiasResidualPostLayerNormIfLi2ELi64EEvPT_PKS0_S3_S3_S3_fi
; %bb.0:
	s_load_dwordx2 s[14:15], s[4:5], 0x28
	s_load_dwordx2 s[12:13], s[4:5], 0x0
	v_mov_b32_e32 v7, 0
	v_lshlrev_b32_e32 v6, 2, v0
                                        ; implicit-def: $vgpr4
	s_waitcnt lgkmcnt(0)
	s_mul_i32 s16, s6, s15
	v_cmp_gt_i32_e64 s[0:1], s15, v0
	v_add_u32_e32 v2, s16, v0
	s_and_saveexec_b64 s[2:3], s[0:1]
	s_cbranch_execz .LBB3_4
; %bb.1:
	s_load_dwordx4 s[8:11], s[4:5], 0x8
	s_load_dword s6, s[4:5], 0x3c
	v_mov_b32_e32 v3, 0
	v_lshlrev_b64 v[4:5], 2, v[2:3]
	v_mov_b32_e32 v1, s13
	v_add_co_u32_e32 v8, vcc, s12, v4
	v_addc_co_u32_e32 v9, vcc, v1, v5, vcc
	s_waitcnt lgkmcnt(0)
	v_mov_b32_e32 v1, s9
	v_add_co_u32_e32 v4, vcc, s8, v4
	global_load_dword v7, v[8:9], off
	v_addc_co_u32_e32 v5, vcc, v1, v5, vcc
	global_load_dword v8, v[4:5], off
	global_load_dword v9, v6, s[10:11]
	s_and_b32 s17, s6, 0xffff
	v_add_u32_e32 v1, s17, v0
	v_cmp_gt_u32_e32 vcc, s15, v1
	s_waitcnt vmcnt(1)
	v_add_f32_e32 v4, v7, v8
	s_waitcnt vmcnt(0)
	v_add_f32_e32 v4, v4, v9
	v_add_f32_e32 v7, 0, v4
	s_and_saveexec_b64 s[6:7], vcc
	s_cbranch_execz .LBB3_3
; %bb.2:
	v_mov_b32_e32 v5, s11
	v_add_co_u32_e32 v12, vcc, s10, v6
	v_add_u32_e32 v8, s16, v1
	v_mov_b32_e32 v9, v3
	v_addc_co_u32_e32 v5, vcc, 0, v5, vcc
	v_lshlrev_b64 v[8:9], 2, v[8:9]
	v_mov_b32_e32 v1, s13
	v_add_co_u32_e32 v10, vcc, s12, v8
	v_addc_co_u32_e32 v11, vcc, v1, v9, vcc
	v_mov_b32_e32 v3, s9
	v_add_co_u32_e32 v8, vcc, s8, v8
	v_addc_co_u32_e32 v9, vcc, v3, v9, vcc
	s_lshl_b32 s8, s17, 2
	global_load_dword v3, v[8:9], off
	v_add_co_u32_e32 v8, vcc, s8, v12
	global_load_dword v1, v[10:11], off
	v_addc_co_u32_e32 v9, vcc, 0, v5, vcc
	global_load_dword v5, v[8:9], off
	s_waitcnt vmcnt(1)
	v_add_f32_e32 v1, v1, v3
	s_waitcnt vmcnt(0)
	v_add_f32_e32 v5, v1, v5
	v_add_f32_e32 v7, v7, v5
.LBB3_3:
	s_or_b64 exec, exec, s[6:7]
.LBB3_4:
	s_or_b64 exec, exec, s[2:3]
	v_mbcnt_lo_u32_b32 v1, -1, 0
	v_mbcnt_hi_u32_b32 v11, -1, v1
	v_and_b32_e32 v1, 64, v11
	v_add_u32_e32 v13, 64, v1
	v_xor_b32_e32 v1, 32, v11
	v_cmp_lt_i32_e32 vcc, v1, v13
	v_cndmask_b32_e32 v1, v11, v1, vcc
	v_lshlrev_b32_e32 v1, 2, v1
	ds_bpermute_b32 v3, v1, v7
	v_xor_b32_e32 v8, 16, v11
	v_cmp_lt_i32_e32 vcc, v8, v13
	v_xor_b32_e32 v9, 8, v11
	v_xor_b32_e32 v10, 4, v11
	s_waitcnt lgkmcnt(0)
	v_add_f32_e32 v7, v7, v3
	v_cndmask_b32_e32 v3, v11, v8, vcc
	v_lshlrev_b32_e32 v3, 2, v3
	ds_bpermute_b32 v8, v3, v7
	v_cmp_lt_i32_e32 vcc, v9, v13
	v_xor_b32_e32 v12, 2, v11
	v_xor_b32_e32 v14, 1, v11
	s_waitcnt lgkmcnt(0)
	v_add_f32_e32 v7, v7, v8
	v_cndmask_b32_e32 v8, v11, v9, vcc
	v_lshlrev_b32_e32 v8, 2, v8
	ds_bpermute_b32 v9, v8, v7
	v_cmp_lt_i32_e32 vcc, v10, v13
	s_waitcnt lgkmcnt(0)
	v_add_f32_e32 v7, v7, v9
	v_cndmask_b32_e32 v9, v11, v10, vcc
	v_lshlrev_b32_e32 v9, 2, v9
	ds_bpermute_b32 v10, v9, v7
	v_cmp_lt_i32_e32 vcc, v12, v13
	;; [unrolled: 6-line block ×3, first 2 shown]
	v_lshrrev_b32_e32 v13, 4, v0
	s_waitcnt lgkmcnt(0)
	v_add_f32_e32 v12, v7, v12
	v_cndmask_b32_e32 v7, v11, v14, vcc
	v_lshlrev_b32_e32 v11, 2, v7
	ds_bpermute_b32 v14, v11, v12
	v_and_b32_e32 v7, 63, v0
	v_cmp_eq_u32_e64 s[2:3], 0, v7
	s_and_saveexec_b64 s[6:7], s[2:3]
	s_cbranch_execz .LBB3_6
; %bb.5:
	s_waitcnt lgkmcnt(0)
	v_add_f32_e32 v12, v12, v14
	ds_write_b32 v13, v12
.LBB3_6:
	s_or_b64 exec, exec, s[6:7]
	s_waitcnt lgkmcnt(0)
	s_barrier
	s_load_dword s10, s[4:5], 0x3c
	v_mov_b32_e32 v12, 0
	v_lshlrev_b32_e32 v14, 2, v7
	s_waitcnt lgkmcnt(0)
	s_bfe_u32 s6, s10, 0xa0006
	v_cmp_gt_u32_e64 s[6:7], s6, v0
	s_and_saveexec_b64 s[8:9], s[6:7]
	s_cbranch_execz .LBB3_8
; %bb.7:
	ds_read_b32 v12, v14
.LBB3_8:
	s_or_b64 exec, exec, s[8:9]
	s_waitcnt lgkmcnt(0)
	ds_bpermute_b32 v7, v1, v12
	s_and_b32 s17, s10, 0xffff
	v_cmp_eq_u32_e64 s[8:9], 0, v0
	s_waitcnt lgkmcnt(0)
	v_add_f32_e32 v7, v12, v7
	ds_bpermute_b32 v12, v3, v7
	s_waitcnt lgkmcnt(0)
	v_add_f32_e32 v7, v7, v12
	ds_bpermute_b32 v12, v8, v7
	;; [unrolled: 3-line block ×5, first 2 shown]
	v_cvt_f32_i32_e32 v12, s15
	s_and_saveexec_b64 s[10:11], s[8:9]
	s_cbranch_execz .LBB3_10
; %bb.9:
	s_waitcnt lgkmcnt(0)
	v_add_f32_e32 v7, v7, v15
	v_div_scale_f32 v15, s[18:19], v12, v12, v7
	v_rcp_f32_e32 v16, v15
	v_div_scale_f32 v17, vcc, v7, v12, v7
	v_fma_f32 v18, -v15, v16, 1.0
	v_fmac_f32_e32 v16, v18, v16
	v_mul_f32_e32 v18, v17, v16
	v_fma_f32 v19, -v15, v18, v17
	v_fmac_f32_e32 v18, v19, v16
	v_fma_f32 v15, -v15, v18, v17
	v_div_fmas_f32 v15, v15, v16, v18
	v_div_fixup_f32 v7, v15, v12, v7
	v_mov_b32_e32 v15, 0
	ds_write_b32 v15, v7 offset:68
.LBB3_10:
	s_or_b64 exec, exec, s[10:11]
	s_waitcnt lgkmcnt(0)
	v_mov_b32_e32 v15, 0
	v_add_u32_e32 v7, s17, v0
	s_barrier
	s_and_saveexec_b64 s[10:11], s[0:1]
	s_cbranch_execz .LBB3_12
; %bb.11:
	v_mov_b32_e32 v0, 0
	ds_read_b32 v0, v0 offset:68
	v_cmp_gt_u32_e32 vcc, s15, v7
	s_waitcnt lgkmcnt(0)
	v_pk_add_f32 v[16:17], v[4:5], v[0:1] op_sel_hi:[1,0] neg_lo:[0,1] neg_hi:[0,1]
	v_pk_mul_f32 v[16:17], v[16:17], v[16:17]
	v_add_f32_e32 v0, v16, v17
	v_cndmask_b32_e32 v15, v16, v0, vcc
.LBB3_12:
	s_or_b64 exec, exec, s[10:11]
	ds_bpermute_b32 v0, v1, v15
	s_waitcnt lgkmcnt(0)
	v_add_f32_e32 v0, v15, v0
	ds_bpermute_b32 v15, v3, v0
	s_waitcnt lgkmcnt(0)
	v_add_f32_e32 v0, v0, v15
	;; [unrolled: 3-line block ×5, first 2 shown]
	ds_bpermute_b32 v15, v11, v0
	s_and_saveexec_b64 s[10:11], s[2:3]
	s_cbranch_execz .LBB3_14
; %bb.13:
	s_waitcnt lgkmcnt(0)
	v_add_f32_e32 v0, v0, v15
	ds_write_b32 v13, v0
.LBB3_14:
	s_or_b64 exec, exec, s[10:11]
	v_mov_b32_e32 v0, 0
	s_waitcnt lgkmcnt(0)
	s_barrier
	s_and_saveexec_b64 s[2:3], s[6:7]
	s_cbranch_execz .LBB3_16
; %bb.15:
	ds_read_b32 v0, v14
.LBB3_16:
	s_or_b64 exec, exec, s[2:3]
	s_waitcnt lgkmcnt(0)
	ds_bpermute_b32 v1, v1, v0
	s_waitcnt lgkmcnt(0)
	v_add_f32_e32 v0, v0, v1
	ds_bpermute_b32 v1, v3, v0
	s_waitcnt lgkmcnt(0)
	v_add_f32_e32 v0, v0, v1
	;; [unrolled: 3-line block ×5, first 2 shown]
	ds_bpermute_b32 v1, v11, v0
	s_and_saveexec_b64 s[2:3], s[8:9]
	s_cbranch_execz .LBB3_18
; %bb.17:
	s_waitcnt lgkmcnt(0)
	v_add_f32_e32 v0, v0, v1
	v_div_scale_f32 v1, s[6:7], v12, v12, v0
	v_rcp_f32_e32 v3, v1
	v_div_scale_f32 v8, vcc, v0, v12, v0
	v_fma_f32 v9, -v1, v3, 1.0
	v_fmac_f32_e32 v3, v9, v3
	v_mul_f32_e32 v9, v8, v3
	v_fma_f32 v10, -v1, v9, v8
	v_fmac_f32_e32 v9, v10, v3
	v_fma_f32 v1, -v1, v9, v8
	v_div_fmas_f32 v1, v1, v3, v9
	v_div_fixup_f32 v0, v1, v12, v0
	v_add_f32_e32 v0, s14, v0
	v_mov_b32_e32 v1, 0
	ds_write_b32 v1, v0 offset:64
.LBB3_18:
	s_or_b64 exec, exec, s[2:3]
	s_waitcnt lgkmcnt(0)
	s_barrier
	s_and_saveexec_b64 s[2:3], s[0:1]
	s_cbranch_execz .LBB3_21
; %bb.19:
	s_load_dwordx4 s[4:7], s[4:5], 0x18
	v_mov_b32_e32 v3, 0
	s_mov_b32 s0, 0x800000
	v_lshlrev_b64 v[8:9], 2, v[2:3]
	v_mov_b32_e32 v12, s13
	s_waitcnt lgkmcnt(0)
	global_load_dword v10, v6, s[4:5]
	global_load_dword v11, v6, s[6:7]
	ds_read_b64 v[0:1], v3 offset:64
	s_waitcnt lgkmcnt(0)
	v_mul_f32_e32 v2, 0x4b800000, v0
	v_cmp_gt_f32_e32 vcc, s0, v0
	v_cndmask_b32_e32 v0, v0, v2, vcc
	v_rsq_f32_e32 v0, v0
	v_sub_f32_e32 v2, v4, v1
	v_add_co_u32_e64 v8, s[0:1], s12, v8
	v_mul_f32_e32 v4, 0x45800000, v0
	v_cndmask_b32_e32 v0, v0, v4, vcc
	v_mul_f32_e32 v2, v2, v0
	v_addc_co_u32_e64 v9, s[0:1], v12, v9, s[0:1]
	v_cmp_gt_u32_e32 vcc, s15, v7
	s_waitcnt vmcnt(0)
	v_fmac_f32_e32 v11, v10, v2
	global_store_dword v[8:9], v11, off
	s_and_b64 exec, exec, vcc
	s_cbranch_execz .LBB3_21
; %bb.20:
	v_mov_b32_e32 v2, s5
	v_add_co_u32_e32 v4, vcc, s4, v6
	v_addc_co_u32_e32 v2, vcc, 0, v2, vcc
	v_mov_b32_e32 v8, s7
	v_add_co_u32_e32 v6, vcc, s6, v6
	v_addc_co_u32_e32 v10, vcc, 0, v8, vcc
	s_lshl_b32 s0, s17, 2
	v_add_co_u32_e32 v8, vcc, s0, v4
	v_addc_co_u32_e32 v9, vcc, 0, v2, vcc
	global_load_dword v4, v[8:9], off
	v_add_co_u32_e32 v8, vcc, s0, v6
	v_addc_co_u32_e32 v9, vcc, 0, v10, vcc
	global_load_dword v6, v[8:9], off
	v_sub_f32_e32 v1, v5, v1
	v_add_u32_e32 v2, s16, v7
	v_mul_f32_e32 v7, v1, v0
	v_lshlrev_b64 v[0:1], 2, v[2:3]
	v_mov_b32_e32 v5, s13
	v_add_co_u32_e32 v0, vcc, s12, v0
	v_addc_co_u32_e32 v1, vcc, v5, v1, vcc
	s_waitcnt vmcnt(0)
	v_fmac_f32_e32 v6, v4, v7
	global_store_dword v[0:1], v6, off
.LBB3_21:
	s_endpgm
	.section	.rodata,"a",@progbits
	.p2align	6, 0x0
	.amdhsa_kernel _Z28addBiasResidualPostLayerNormIfLi2ELi64EEvPT_PKS0_S3_S3_S3_fi
		.amdhsa_group_segment_fixed_size 72
		.amdhsa_private_segment_fixed_size 0
		.amdhsa_kernarg_size 304
		.amdhsa_user_sgpr_count 6
		.amdhsa_user_sgpr_private_segment_buffer 1
		.amdhsa_user_sgpr_dispatch_ptr 0
		.amdhsa_user_sgpr_queue_ptr 0
		.amdhsa_user_sgpr_kernarg_segment_ptr 1
		.amdhsa_user_sgpr_dispatch_id 0
		.amdhsa_user_sgpr_flat_scratch_init 0
		.amdhsa_user_sgpr_kernarg_preload_length 0
		.amdhsa_user_sgpr_kernarg_preload_offset 0
		.amdhsa_user_sgpr_private_segment_size 0
		.amdhsa_uses_dynamic_stack 0
		.amdhsa_system_sgpr_private_segment_wavefront_offset 0
		.amdhsa_system_sgpr_workgroup_id_x 1
		.amdhsa_system_sgpr_workgroup_id_y 0
		.amdhsa_system_sgpr_workgroup_id_z 0
		.amdhsa_system_sgpr_workgroup_info 0
		.amdhsa_system_vgpr_workitem_id 0
		.amdhsa_next_free_vgpr 20
		.amdhsa_next_free_sgpr 20
		.amdhsa_accum_offset 20
		.amdhsa_reserve_vcc 1
		.amdhsa_reserve_flat_scratch 0
		.amdhsa_float_round_mode_32 0
		.amdhsa_float_round_mode_16_64 0
		.amdhsa_float_denorm_mode_32 3
		.amdhsa_float_denorm_mode_16_64 3
		.amdhsa_dx10_clamp 1
		.amdhsa_ieee_mode 1
		.amdhsa_fp16_overflow 0
		.amdhsa_tg_split 0
		.amdhsa_exception_fp_ieee_invalid_op 0
		.amdhsa_exception_fp_denorm_src 0
		.amdhsa_exception_fp_ieee_div_zero 0
		.amdhsa_exception_fp_ieee_overflow 0
		.amdhsa_exception_fp_ieee_underflow 0
		.amdhsa_exception_fp_ieee_inexact 0
		.amdhsa_exception_int_div_zero 0
	.end_amdhsa_kernel
	.section	.text._Z28addBiasResidualPostLayerNormIfLi2ELi64EEvPT_PKS0_S3_S3_S3_fi,"axG",@progbits,_Z28addBiasResidualPostLayerNormIfLi2ELi64EEvPT_PKS0_S3_S3_S3_fi,comdat
.Lfunc_end3:
	.size	_Z28addBiasResidualPostLayerNormIfLi2ELi64EEvPT_PKS0_S3_S3_S3_fi, .Lfunc_end3-_Z28addBiasResidualPostLayerNormIfLi2ELi64EEvPT_PKS0_S3_S3_S3_fi
                                        ; -- End function
	.section	.AMDGPU.csdata,"",@progbits
; Kernel info:
; codeLenInByte = 1520
; NumSgprs: 24
; NumVgprs: 20
; NumAgprs: 0
; TotalNumVgprs: 20
; ScratchSize: 0
; MemoryBound: 0
; FloatMode: 240
; IeeeMode: 1
; LDSByteSize: 72 bytes/workgroup (compile time only)
; SGPRBlocks: 2
; VGPRBlocks: 2
; NumSGPRsForWavesPerEU: 24
; NumVGPRsForWavesPerEU: 20
; AccumOffset: 20
; Occupancy: 8
; WaveLimiterHint : 0
; COMPUTE_PGM_RSRC2:SCRATCH_EN: 0
; COMPUTE_PGM_RSRC2:USER_SGPR: 6
; COMPUTE_PGM_RSRC2:TRAP_HANDLER: 0
; COMPUTE_PGM_RSRC2:TGID_X_EN: 1
; COMPUTE_PGM_RSRC2:TGID_Y_EN: 0
; COMPUTE_PGM_RSRC2:TGID_Z_EN: 0
; COMPUTE_PGM_RSRC2:TIDIG_COMP_CNT: 0
; COMPUTE_PGM_RSRC3_GFX90A:ACCUM_OFFSET: 4
; COMPUTE_PGM_RSRC3_GFX90A:TG_SPLIT: 0
	.section	.text._Z35generalAddBiasResidualPostLayerNormIfLi64EEvPT_PKS0_S3_S3_S3_fi,"axG",@progbits,_Z35generalAddBiasResidualPostLayerNormIfLi64EEvPT_PKS0_S3_S3_S3_fi,comdat
	.protected	_Z35generalAddBiasResidualPostLayerNormIfLi64EEvPT_PKS0_S3_S3_S3_fi ; -- Begin function _Z35generalAddBiasResidualPostLayerNormIfLi64EEvPT_PKS0_S3_S3_S3_fi
	.globl	_Z35generalAddBiasResidualPostLayerNormIfLi64EEvPT_PKS0_S3_S3_S3_fi
	.p2align	8
	.type	_Z35generalAddBiasResidualPostLayerNormIfLi64EEvPT_PKS0_S3_S3_S3_fi,@function
_Z35generalAddBiasResidualPostLayerNormIfLi64EEvPT_PKS0_S3_S3_S3_fi: ; @_Z35generalAddBiasResidualPostLayerNormIfLi64EEvPT_PKS0_S3_S3_S3_fi
; %bb.0:
	s_load_dwordx2 s[18:19], s[4:5], 0x28
	s_load_dwordx2 s[16:17], s[4:5], 0x0
	s_load_dwordx4 s[8:11], s[4:5], 0x18
	v_mov_b32_e32 v4, 0
	s_waitcnt lgkmcnt(0)
	s_lshr_b32 s0, s19, 31
	s_add_i32 s0, s19, s0
	s_ashr_i32 s20, s0, 1
	v_cmp_gt_i32_e64 s[0:1], s20, v0
	s_mul_i32 s21, s6, s19
	s_and_saveexec_b64 s[2:3], s[0:1]
	s_cbranch_execz .LBB4_4
; %bb.1:
	s_load_dword s6, s[4:5], 0x3c
	s_load_dwordx4 s[12:15], s[4:5], 0x8
	v_lshlrev_b32_e32 v1, 3, v0
	s_mov_b32 s24, 0
	s_lshr_b32 s22, s21, 1
	s_waitcnt lgkmcnt(0)
	s_and_b32 s23, s6, 0xffff
	v_mov_b32_e32 v3, s15
	v_add_co_u32_e32 v2, vcc, s14, v1
	v_addc_co_u32_e32 v3, vcc, 0, v3, vcc
	s_lshl_b32 s14, s23, 3
	s_mov_b64 s[6:7], 0
	v_mov_b32_e32 v4, 0
	v_mov_b32_e32 v1, s17
	v_mov_b32_e32 v5, s13
	v_mov_b32_e32 v6, s24
	v_mov_b32_e32 v7, v0
.LBB4_2:                                ; =>This Inner Loop Header: Depth=1
	v_add_u32_e32 v8, s22, v7
	v_ashrrev_i32_e32 v9, 31, v8
	v_lshlrev_b64 v[8:9], 3, v[8:9]
	v_add_co_u32_e32 v10, vcc, s16, v8
	v_addc_co_u32_e32 v11, vcc, v1, v9, vcc
	v_add_co_u32_e32 v8, vcc, s12, v8
	v_addc_co_u32_e32 v9, vcc, v5, v9, vcc
	global_load_dwordx2 v[12:13], v[10:11], off
	global_load_dwordx2 v[14:15], v[8:9], off
	;; [unrolled: 1-line block ×3, first 2 shown]
	v_add_co_u32_e32 v2, vcc, s14, v2
	v_add_u32_e32 v7, s23, v7
	v_addc_co_u32_e32 v3, vcc, v3, v6, vcc
	v_cmp_le_i32_e32 vcc, s20, v7
	s_or_b64 s[6:7], vcc, s[6:7]
	s_waitcnt vmcnt(1)
	v_pk_add_f32 v[8:9], v[12:13], v[14:15]
	s_waitcnt vmcnt(0)
	v_pk_add_f32 v[8:9], v[16:17], v[8:9]
	v_add_f32_e32 v4, v4, v8
	v_add_f32_e32 v4, v4, v9
	global_store_dwordx2 v[10:11], v[8:9], off
	s_andn2_b64 exec, exec, s[6:7]
	s_cbranch_execnz .LBB4_2
; %bb.3:
	s_or_b64 exec, exec, s[6:7]
.LBB4_4:
	s_or_b64 exec, exec, s[2:3]
	v_mbcnt_lo_u32_b32 v1, -1, 0
	v_mbcnt_hi_u32_b32 v2, -1, v1
	v_and_b32_e32 v1, 64, v2
	v_add_u32_e32 v8, 64, v1
	v_xor_b32_e32 v1, 32, v2
	v_cmp_lt_i32_e32 vcc, v1, v8
	v_cndmask_b32_e32 v1, v2, v1, vcc
	v_lshlrev_b32_e32 v1, 2, v1
	ds_bpermute_b32 v3, v1, v4
	v_xor_b32_e32 v5, 16, v2
	v_cmp_lt_i32_e32 vcc, v5, v8
	v_xor_b32_e32 v6, 8, v2
	v_xor_b32_e32 v7, 4, v2
	s_waitcnt lgkmcnt(0)
	v_add_f32_e32 v3, v4, v3
	v_cndmask_b32_e32 v4, v2, v5, vcc
	v_lshlrev_b32_e32 v4, 2, v4
	ds_bpermute_b32 v5, v4, v3
	v_cmp_lt_i32_e32 vcc, v6, v8
	v_xor_b32_e32 v9, 2, v2
	v_xor_b32_e32 v10, 1, v2
	s_waitcnt lgkmcnt(0)
	v_add_f32_e32 v3, v3, v5
	v_cndmask_b32_e32 v5, v2, v6, vcc
	v_lshlrev_b32_e32 v5, 2, v5
	ds_bpermute_b32 v6, v5, v3
	v_cmp_lt_i32_e32 vcc, v7, v8
	s_waitcnt lgkmcnt(0)
	v_add_f32_e32 v3, v3, v6
	v_cndmask_b32_e32 v6, v2, v7, vcc
	v_lshlrev_b32_e32 v6, 2, v6
	ds_bpermute_b32 v7, v6, v3
	v_cmp_lt_i32_e32 vcc, v9, v8
	;; [unrolled: 6-line block ×3, first 2 shown]
	v_cndmask_b32_e32 v2, v2, v10, vcc
	v_lshlrev_b32_e32 v8, 2, v2
	v_and_b32_e32 v2, 63, v0
	s_waitcnt lgkmcnt(0)
	v_add_f32_e32 v3, v3, v9
	ds_bpermute_b32 v9, v8, v3
	v_cmp_eq_u32_e64 s[2:3], 0, v2
	v_lshrrev_b32_e32 v10, 4, v0
	s_and_saveexec_b64 s[6:7], s[2:3]
	s_cbranch_execz .LBB4_6
; %bb.5:
	s_waitcnt lgkmcnt(0)
	v_add_f32_e32 v3, v3, v9
	ds_write_b32 v10, v3
.LBB4_6:
	s_or_b64 exec, exec, s[6:7]
	s_waitcnt lgkmcnt(0)
	s_barrier
	s_load_dword s14, s[4:5], 0x3c
	v_mov_b32_e32 v3, 0
	v_lshlrev_b32_e32 v11, 2, v2
	s_waitcnt lgkmcnt(0)
	s_bfe_u32 s4, s14, 0xa0006
	v_cmp_gt_u32_e64 s[4:5], s4, v0
	s_and_saveexec_b64 s[6:7], s[4:5]
	s_cbranch_execz .LBB4_8
; %bb.7:
	ds_read_b32 v3, v11
.LBB4_8:
	s_or_b64 exec, exec, s[6:7]
	s_waitcnt lgkmcnt(0)
	ds_bpermute_b32 v2, v1, v3
	v_cvt_f32_i32_e32 v9, s19
	v_cmp_eq_u32_e64 s[6:7], 0, v0
	s_waitcnt lgkmcnt(0)
	v_add_f32_e32 v2, v3, v2
	ds_bpermute_b32 v3, v4, v2
	s_waitcnt lgkmcnt(0)
	v_add_f32_e32 v2, v2, v3
	ds_bpermute_b32 v3, v5, v2
	;; [unrolled: 3-line block ×5, first 2 shown]
	s_and_saveexec_b64 s[12:13], s[6:7]
	s_cbranch_execz .LBB4_10
; %bb.9:
	s_waitcnt lgkmcnt(0)
	v_add_f32_e32 v2, v2, v3
	v_div_scale_f32 v3, s[22:23], v9, v9, v2
	v_rcp_f32_e32 v12, v3
	v_div_scale_f32 v13, vcc, v2, v9, v2
	v_fma_f32 v14, -v3, v12, 1.0
	v_fmac_f32_e32 v12, v14, v12
	v_mul_f32_e32 v14, v13, v12
	v_fma_f32 v15, -v3, v14, v13
	v_fmac_f32_e32 v14, v15, v12
	v_fma_f32 v3, -v3, v14, v13
	v_div_fmas_f32 v3, v3, v12, v14
	v_div_fixup_f32 v2, v3, v9, v2
	v_mov_b32_e32 v3, 0
	ds_write_b32 v3, v2 offset:68
.LBB4_10:
	s_or_b64 exec, exec, s[12:13]
	s_and_b32 s19, s14, 0xffff
	v_mov_b32_e32 v12, 0
	s_waitcnt lgkmcnt(0)
	s_barrier
	s_and_saveexec_b64 s[12:13], s[0:1]
	s_cbranch_execz .LBB4_14
; %bb.11:
	v_mov_b32_e32 v12, 0
	ds_read_b32 v2, v12 offset:68
	s_lshr_b32 s22, s21, 1
	s_mov_b64 s[14:15], 0
	v_mov_b32_e32 v13, s17
	v_mov_b32_e32 v14, v0
	s_waitcnt lgkmcnt(0)
	v_mov_b32_e32 v3, v2
.LBB4_12:                               ; =>This Inner Loop Header: Depth=1
	v_add_u32_e32 v16, s22, v14
	v_ashrrev_i32_e32 v17, 31, v16
	v_lshlrev_b64 v[16:17], 3, v[16:17]
	v_add_co_u32_e32 v16, vcc, s16, v16
	v_addc_co_u32_e32 v17, vcc, v13, v17, vcc
	global_load_dwordx2 v[16:17], v[16:17], off
	v_add_u32_e32 v14, s19, v14
	v_cmp_le_i32_e32 vcc, s20, v14
	s_or_b64 s[14:15], vcc, s[14:15]
	s_waitcnt vmcnt(0)
	v_pk_add_f32 v[16:17], v[16:17], v[2:3] neg_lo:[0,1] neg_hi:[0,1]
	v_pk_mul_f32 v[16:17], v[16:17], v[16:17]
	v_add_f32_e32 v12, v12, v16
	v_add_f32_e32 v12, v17, v12
	s_andn2_b64 exec, exec, s[14:15]
	s_cbranch_execnz .LBB4_12
; %bb.13:
	s_or_b64 exec, exec, s[14:15]
.LBB4_14:
	s_or_b64 exec, exec, s[12:13]
	ds_bpermute_b32 v2, v1, v12
	s_waitcnt lgkmcnt(0)
	v_add_f32_e32 v2, v12, v2
	ds_bpermute_b32 v3, v4, v2
	s_waitcnt lgkmcnt(0)
	v_add_f32_e32 v2, v2, v3
	;; [unrolled: 3-line block ×5, first 2 shown]
	ds_bpermute_b32 v3, v8, v2
	s_and_saveexec_b64 s[12:13], s[2:3]
	s_cbranch_execz .LBB4_16
; %bb.15:
	s_waitcnt lgkmcnt(0)
	v_add_f32_e32 v2, v2, v3
	ds_write_b32 v10, v2
.LBB4_16:
	s_or_b64 exec, exec, s[12:13]
	v_mov_b32_e32 v2, 0
	s_waitcnt lgkmcnt(0)
	s_barrier
	s_and_saveexec_b64 s[2:3], s[4:5]
	s_cbranch_execz .LBB4_18
; %bb.17:
	ds_read_b32 v2, v11
.LBB4_18:
	s_or_b64 exec, exec, s[2:3]
	s_waitcnt lgkmcnt(0)
	ds_bpermute_b32 v1, v1, v2
	s_waitcnt lgkmcnt(0)
	v_add_f32_e32 v1, v2, v1
	ds_bpermute_b32 v2, v4, v1
	s_waitcnt lgkmcnt(0)
	v_add_f32_e32 v1, v1, v2
	;; [unrolled: 3-line block ×5, first 2 shown]
	ds_bpermute_b32 v2, v8, v1
	s_and_saveexec_b64 s[2:3], s[6:7]
	s_cbranch_execz .LBB4_20
; %bb.19:
	s_waitcnt lgkmcnt(0)
	v_add_f32_e32 v1, v1, v2
	v_div_scale_f32 v2, s[4:5], v9, v9, v1
	v_rcp_f32_e32 v3, v2
	v_div_scale_f32 v4, vcc, v1, v9, v1
	s_mov_b32 s4, 0x800000
	v_fma_f32 v5, -v2, v3, 1.0
	v_fmac_f32_e32 v3, v5, v3
	v_mul_f32_e32 v5, v4, v3
	v_fma_f32 v6, -v2, v5, v4
	v_fmac_f32_e32 v5, v6, v3
	v_fma_f32 v2, -v2, v5, v4
	v_div_fmas_f32 v2, v2, v3, v5
	v_div_fixup_f32 v1, v2, v9, v1
	v_add_f32_e32 v1, s18, v1
	v_mul_f32_e32 v2, 0x4b800000, v1
	v_cmp_gt_f32_e32 vcc, s4, v1
	v_cndmask_b32_e32 v1, v1, v2, vcc
	v_rsq_f32_e32 v1, v1
	v_mul_f32_e32 v2, 0x45800000, v1
	v_cndmask_b32_e32 v1, v1, v2, vcc
	v_mov_b32_e32 v2, 0
	ds_write_b32 v2, v1 offset:64
.LBB4_20:
	s_or_b64 exec, exec, s[2:3]
	s_waitcnt lgkmcnt(0)
	s_barrier
	s_and_saveexec_b64 s[2:3], s[0:1]
	s_cbranch_execz .LBB4_30
; %bb.21:
	v_cvt_f32_u32_e32 v1, s19
	v_add_u32_e32 v4, s19, v0
	v_mov_b32_e32 v6, s19
	v_cmp_gt_i32_e64 s[0:1], s20, v4
	v_rcp_iflag_f32_e32 v1, v1
	s_sub_i32 s2, 0, s19
	v_max_i32_e32 v7, s20, v4
	v_addc_co_u32_e64 v4, vcc, v0, v6, s[0:1]
	v_mul_f32_e32 v1, 0x4f7ffffe, v1
	v_cvt_u32_f32_e32 v1, v1
	v_sub_u32_e32 v4, v7, v4
	v_mov_b32_e32 v5, 0
	ds_read_b64 v[2:3], v5 offset:64
	v_mul_lo_u32 v6, s2, v1
	v_mul_hi_u32 v6, v1, v6
	v_add_u32_e32 v1, v1, v6
	v_mul_hi_u32 v1, v4, v1
	v_mul_lo_u32 v6, v1, s19
	v_sub_u32_e32 v4, v4, v6
	v_add_u32_e32 v6, 1, v1
	v_cmp_le_u32_e32 vcc, s19, v4
	v_cndmask_b32_e32 v1, v1, v6, vcc
	v_subrev_u32_e32 v6, s19, v4
	v_cndmask_b32_e32 v4, v4, v6, vcc
	v_add_u32_e32 v6, 1, v1
	v_cmp_le_u32_e32 vcc, s19, v4
	v_cndmask_b32_e32 v1, v1, v6, vcc
	v_addc_co_u32_e64 v12, vcc, 1, v1, s[0:1]
	s_lshr_b32 s12, s21, 1
	v_cmp_gt_u32_e32 vcc, 48, v12
	v_cmp_lt_u32_e64 s[2:3], 47, v12
	s_and_saveexec_b64 s[6:7], s[2:3]
	s_cbranch_execz .LBB4_27
; %bb.22:
	v_addc_co_u32_e64 v4, s[0:1], 0, v1, s[0:1]
	v_add_u32_e32 v6, s12, v0
	v_add_u32_e32 v1, v6, v4
	v_ashrrev_i32_e32 v7, 31, v6
	v_cmp_ge_i32_e64 s[0:1], v1, v6
	v_lshlrev_b64 v[6:7], 3, v[6:7]
	v_mov_b32_e32 v1, s17
	v_add_co_u32_e64 v6, s[2:3], s16, v6
	v_addc_co_u32_e64 v7, s[2:3], v1, v7, s[2:3]
	v_add_co_u32_e64 v8, s[2:3], 4, v6
	v_addc_co_u32_e64 v9, s[2:3], 0, v7, s[2:3]
	v_lshlrev_b64 v[4:5], 3, v[4:5]
	v_add_co_u32_e64 v4, s[2:3], v6, v4
	v_addc_co_u32_e64 v5, s[2:3], v7, v5, s[2:3]
	s_cmp_eq_u32 s19, 1
	v_add_co_u32_e64 v10, s[2:3], 4, v4
	s_cselect_b64 s[14:15], -1, 0
	v_addc_co_u32_e64 v11, s[2:3], 0, v5, s[2:3]
	v_cmp_ge_u64_e64 s[2:3], v[10:11], v[8:9]
	s_and_b64 s[0:1], s[14:15], s[0:1]
	v_cmp_ge_u64_e64 s[4:5], v[4:5], v[6:7]
	s_and_b64 s[0:1], s[0:1], s[2:3]
	s_and_b64 s[4:5], s[0:1], s[4:5]
	s_mov_b64 s[0:1], -1
	s_and_saveexec_b64 s[2:3], s[4:5]
	s_cbranch_execz .LBB4_26
; %bb.23:
	v_and_b32_e32 v13, -2, v12
	v_add_u32_e32 v1, 1, v0
	s_mov_b32 s13, s12
	s_waitcnt lgkmcnt(0)
	v_mov_b32_e32 v4, v3
	v_mov_b32_e32 v5, v3
	;; [unrolled: 1-line block ×4, first 2 shown]
	s_mov_b64 s[4:5], 0
	v_mov_b32_e32 v14, s17
	v_mov_b32_e32 v15, s9
	;; [unrolled: 1-line block ×5, first 2 shown]
	v_pk_mov_b32 v[10:11], v[0:1], v[0:1] op_sel:[0,1]
.LBB4_24:                               ; =>This Inner Loop Header: Depth=1
	v_mov_b32_e32 v8, v10
	v_lshlrev_b64 v[22:23], 3, v[8:9]
	v_add_co_u32_e64 v24, s[0:1], s8, v22
	v_add_u32_e32 v18, s12, v10
	v_addc_co_u32_e64 v25, s[0:1], v15, v23, s[0:1]
	v_ashrrev_i32_e32 v19, 31, v18
	v_add_co_u32_e64 v22, s[0:1], s10, v22
	v_add_u32_e32 v20, s13, v11
	v_lshlrev_b64 v[18:19], 3, v[18:19]
	v_addc_co_u32_e64 v23, s[0:1], v16, v23, s[0:1]
	v_ashrrev_i32_e32 v21, 31, v20
	v_add_co_u32_e64 v18, s[0:1], s16, v18
	v_lshlrev_b64 v[20:21], 3, v[20:21]
	v_addc_co_u32_e64 v19, s[0:1], v14, v19, s[0:1]
	v_mov_b32_e32 v8, v11
	v_add_co_u32_e64 v20, s[0:1], s16, v20
	v_lshlrev_b64 v[26:27], 3, v[8:9]
	v_addc_co_u32_e64 v21, s[0:1], v14, v21, s[0:1]
	v_add_co_u32_e64 v28, s[0:1], s8, v26
	v_addc_co_u32_e64 v29, s[0:1], v15, v27, s[0:1]
	v_add_co_u32_e64 v26, s[0:1], s10, v26
	global_load_dwordx2 v[24:25], v[24:25], off
	v_addc_co_u32_e64 v27, s[0:1], v16, v27, s[0:1]
	global_load_dwordx2 v[30:31], v[22:23], off
	global_load_dwordx2 v[32:33], v[18:19], off
	;; [unrolled: 1-line block ×5, first 2 shown]
	v_add_u32_e32 v17, -2, v17
	v_cmp_eq_u32_e64 s[0:1], 0, v17
	v_add_u32_e32 v10, 2, v10
	v_add_u32_e32 v11, 2, v11
	s_or_b64 s[4:5], s[0:1], s[4:5]
	s_waitcnt vmcnt(5)
	v_mov_b32_e32 v22, v24
	s_waitcnt vmcnt(3)
	v_mov_b32_e32 v26, v32
	;; [unrolled: 2-line block ×3, first 2 shown]
	v_mov_b32_e32 v34, v33
	v_pk_add_f32 v[26:27], v[26:27], v[4:5] neg_lo:[0,1] neg_hi:[0,1]
	v_pk_add_f32 v[28:29], v[34:35], v[4:5] neg_lo:[0,1] neg_hi:[0,1]
	v_mov_b32_e32 v24, v30
	s_waitcnt vmcnt(1)
	v_mov_b32_e32 v23, v36
	v_mov_b32_e32 v36, v25
	s_waitcnt vmcnt(0)
	v_mov_b32_e32 v25, v38
	v_mov_b32_e32 v38, v31
	v_pk_mul_f32 v[26:27], v[26:27], v[6:7]
	v_pk_mul_f32 v[28:29], v[28:29], v[6:7]
	v_pk_fma_f32 v[22:23], v[22:23], v[26:27], v[24:25]
	v_pk_fma_f32 v[24:25], v[36:37], v[28:29], v[38:39]
	v_mov_b32_e32 v26, v22
	v_mov_b32_e32 v27, v24
	;; [unrolled: 1-line block ×3, first 2 shown]
	global_store_dwordx2 v[18:19], v[26:27], off
	global_store_dwordx2 v[20:21], v[24:25], off
	s_andn2_b64 exec, exec, s[4:5]
	s_cbranch_execnz .LBB4_24
; %bb.25:
	s_or_b64 exec, exec, s[4:5]
	v_cmp_ne_u32_e64 s[0:1], v12, v13
	v_add_u32_e32 v0, v0, v13
	s_orn2_b64 s[0:1], s[0:1], exec
.LBB4_26:
	s_or_b64 exec, exec, s[2:3]
	s_andn2_b64 s[2:3], vcc, exec
	s_and_b64 s[0:1], s[0:1], exec
	s_or_b64 vcc, s[2:3], s[0:1]
.LBB4_27:
	s_or_b64 exec, exec, s[6:7]
	s_and_b64 exec, exec, vcc
	s_cbranch_execz .LBB4_30
; %bb.28:
	s_mov_b32 s3, 0
	v_mov_b32_e32 v1, 0
	s_waitcnt lgkmcnt(0)
	v_mov_b32_e32 v4, v3
	v_mov_b32_e32 v5, v3
	v_mov_b32_e32 v3, v2
	v_lshlrev_b64 v[6:7], 3, v[0:1]
	s_lshl_b32 s2, s19, 3
	s_mov_b64 s[0:1], 0
	v_mov_b32_e32 v1, s17
	v_mov_b32_e32 v8, s9
	;; [unrolled: 1-line block ×4, first 2 shown]
.LBB4_29:                               ; =>This Inner Loop Header: Depth=1
	v_add_co_u32_e32 v14, vcc, s8, v6
	v_add_u32_e32 v12, s12, v0
	v_addc_co_u32_e32 v15, vcc, v8, v7, vcc
	v_add_co_u32_e32 v16, vcc, s10, v6
	v_ashrrev_i32_e32 v13, 31, v12
	v_addc_co_u32_e32 v17, vcc, v9, v7, vcc
	v_lshlrev_b64 v[12:13], 3, v[12:13]
	v_add_co_u32_e32 v12, vcc, s16, v12
	v_addc_co_u32_e32 v13, vcc, v1, v13, vcc
	global_load_dwordx2 v[18:19], v[12:13], off
	global_load_dwordx2 v[20:21], v[14:15], off
	;; [unrolled: 1-line block ×3, first 2 shown]
	v_add_co_u32_e32 v6, vcc, s2, v6
	v_add_u32_e32 v0, s19, v0
	v_addc_co_u32_e32 v7, vcc, v7, v10, vcc
	v_cmp_le_i32_e32 vcc, s20, v0
	s_or_b64 s[0:1], vcc, s[0:1]
	s_waitcnt vmcnt(2)
	v_pk_add_f32 v[14:15], v[18:19], v[4:5] neg_lo:[0,1] neg_hi:[0,1]
	v_pk_mul_f32 v[14:15], v[14:15], v[2:3]
	s_waitcnt vmcnt(0)
	v_pk_fma_f32 v[14:15], v[20:21], v[14:15], v[22:23]
	global_store_dwordx2 v[12:13], v[14:15], off
	s_andn2_b64 exec, exec, s[0:1]
	s_cbranch_execnz .LBB4_29
.LBB4_30:
	s_endpgm
	.section	.rodata,"a",@progbits
	.p2align	6, 0x0
	.amdhsa_kernel _Z35generalAddBiasResidualPostLayerNormIfLi64EEvPT_PKS0_S3_S3_S3_fi
		.amdhsa_group_segment_fixed_size 72
		.amdhsa_private_segment_fixed_size 0
		.amdhsa_kernarg_size 304
		.amdhsa_user_sgpr_count 6
		.amdhsa_user_sgpr_private_segment_buffer 1
		.amdhsa_user_sgpr_dispatch_ptr 0
		.amdhsa_user_sgpr_queue_ptr 0
		.amdhsa_user_sgpr_kernarg_segment_ptr 1
		.amdhsa_user_sgpr_dispatch_id 0
		.amdhsa_user_sgpr_flat_scratch_init 0
		.amdhsa_user_sgpr_kernarg_preload_length 0
		.amdhsa_user_sgpr_kernarg_preload_offset 0
		.amdhsa_user_sgpr_private_segment_size 0
		.amdhsa_uses_dynamic_stack 0
		.amdhsa_system_sgpr_private_segment_wavefront_offset 0
		.amdhsa_system_sgpr_workgroup_id_x 1
		.amdhsa_system_sgpr_workgroup_id_y 0
		.amdhsa_system_sgpr_workgroup_id_z 0
		.amdhsa_system_sgpr_workgroup_info 0
		.amdhsa_system_vgpr_workitem_id 0
		.amdhsa_next_free_vgpr 40
		.amdhsa_next_free_sgpr 25
		.amdhsa_accum_offset 40
		.amdhsa_reserve_vcc 1
		.amdhsa_reserve_flat_scratch 0
		.amdhsa_float_round_mode_32 0
		.amdhsa_float_round_mode_16_64 0
		.amdhsa_float_denorm_mode_32 3
		.amdhsa_float_denorm_mode_16_64 3
		.amdhsa_dx10_clamp 1
		.amdhsa_ieee_mode 1
		.amdhsa_fp16_overflow 0
		.amdhsa_tg_split 0
		.amdhsa_exception_fp_ieee_invalid_op 0
		.amdhsa_exception_fp_denorm_src 0
		.amdhsa_exception_fp_ieee_div_zero 0
		.amdhsa_exception_fp_ieee_overflow 0
		.amdhsa_exception_fp_ieee_underflow 0
		.amdhsa_exception_fp_ieee_inexact 0
		.amdhsa_exception_int_div_zero 0
	.end_amdhsa_kernel
	.section	.text._Z35generalAddBiasResidualPostLayerNormIfLi64EEvPT_PKS0_S3_S3_S3_fi,"axG",@progbits,_Z35generalAddBiasResidualPostLayerNormIfLi64EEvPT_PKS0_S3_S3_S3_fi,comdat
.Lfunc_end4:
	.size	_Z35generalAddBiasResidualPostLayerNormIfLi64EEvPT_PKS0_S3_S3_S3_fi, .Lfunc_end4-_Z35generalAddBiasResidualPostLayerNormIfLi64EEvPT_PKS0_S3_S3_S3_fi
                                        ; -- End function
	.section	.AMDGPU.csdata,"",@progbits
; Kernel info:
; codeLenInByte = 2356
; NumSgprs: 29
; NumVgprs: 40
; NumAgprs: 0
; TotalNumVgprs: 40
; ScratchSize: 0
; MemoryBound: 0
; FloatMode: 240
; IeeeMode: 1
; LDSByteSize: 72 bytes/workgroup (compile time only)
; SGPRBlocks: 3
; VGPRBlocks: 4
; NumSGPRsForWavesPerEU: 29
; NumVGPRsForWavesPerEU: 40
; AccumOffset: 40
; Occupancy: 8
; WaveLimiterHint : 0
; COMPUTE_PGM_RSRC2:SCRATCH_EN: 0
; COMPUTE_PGM_RSRC2:USER_SGPR: 6
; COMPUTE_PGM_RSRC2:TRAP_HANDLER: 0
; COMPUTE_PGM_RSRC2:TGID_X_EN: 1
; COMPUTE_PGM_RSRC2:TGID_Y_EN: 0
; COMPUTE_PGM_RSRC2:TGID_Z_EN: 0
; COMPUTE_PGM_RSRC2:TIDIG_COMP_CNT: 0
; COMPUTE_PGM_RSRC3_GFX90A:ACCUM_OFFSET: 9
; COMPUTE_PGM_RSRC3_GFX90A:TG_SPLIT: 0
	.section	.text._Z28addBiasResidualPostLayerNormIfLi1ELi32EEvPT_PKS0_S3_S3_S3_fi,"axG",@progbits,_Z28addBiasResidualPostLayerNormIfLi1ELi32EEvPT_PKS0_S3_S3_S3_fi,comdat
	.protected	_Z28addBiasResidualPostLayerNormIfLi1ELi32EEvPT_PKS0_S3_S3_S3_fi ; -- Begin function _Z28addBiasResidualPostLayerNormIfLi1ELi32EEvPT_PKS0_S3_S3_S3_fi
	.globl	_Z28addBiasResidualPostLayerNormIfLi1ELi32EEvPT_PKS0_S3_S3_S3_fi
	.p2align	8
	.type	_Z28addBiasResidualPostLayerNormIfLi1ELi32EEvPT_PKS0_S3_S3_S3_fi,@function
_Z28addBiasResidualPostLayerNormIfLi1ELi32EEvPT_PKS0_S3_S3_S3_fi: ; @_Z28addBiasResidualPostLayerNormIfLi1ELi32EEvPT_PKS0_S3_S3_S3_fi
; %bb.0:
	s_load_dwordx2 s[12:13], s[4:5], 0x28
	s_load_dwordx2 s[10:11], s[4:5], 0x0
	v_mov_b32_e32 v5, 0
	v_lshlrev_b32_e32 v1, 2, v0
                                        ; implicit-def: $vgpr4
	s_waitcnt lgkmcnt(0)
	s_mul_i32 s6, s6, s13
	v_cmp_gt_i32_e64 s[0:1], s13, v0
	v_add_u32_e32 v2, s6, v0
	s_and_saveexec_b64 s[2:3], s[0:1]
	s_cbranch_execz .LBB5_2
; %bb.1:
	s_load_dwordx4 s[16:19], s[4:5], 0x8
	v_mov_b32_e32 v3, 0
	v_lshlrev_b64 v[4:5], 2, v[2:3]
	v_mov_b32_e32 v3, s11
	v_add_co_u32_e32 v6, vcc, s10, v4
	v_addc_co_u32_e32 v7, vcc, v3, v5, vcc
	global_load_dword v3, v[6:7], off
	s_waitcnt lgkmcnt(0)
	v_mov_b32_e32 v6, s17
	v_add_co_u32_e32 v4, vcc, s16, v4
	v_addc_co_u32_e32 v5, vcc, v6, v5, vcc
	global_load_dword v6, v[4:5], off
	global_load_dword v7, v1, s[18:19]
	s_waitcnt vmcnt(1)
	v_add_f32_e32 v3, v3, v6
	s_waitcnt vmcnt(0)
	v_add_f32_e32 v4, v3, v7
	v_add_f32_e32 v5, 0, v4
.LBB5_2:
	s_or_b64 exec, exec, s[2:3]
	v_mbcnt_lo_u32_b32 v3, -1, 0
	v_mbcnt_hi_u32_b32 v8, -1, v3
	v_and_b32_e32 v3, 0x60, v8
	v_add_u32_e32 v9, 32, v3
	v_xor_b32_e32 v3, 16, v8
	v_cmp_lt_i32_e32 vcc, v3, v9
	v_cndmask_b32_e32 v3, v8, v3, vcc
	v_lshlrev_b32_e32 v3, 2, v3
	ds_bpermute_b32 v6, v3, v5
	v_xor_b32_e32 v7, 8, v8
	v_cmp_lt_i32_e32 vcc, v7, v9
	v_xor_b32_e32 v10, 4, v8
	v_xor_b32_e32 v11, 2, v8
	s_waitcnt lgkmcnt(0)
	v_add_f32_e32 v6, v5, v6
	v_cndmask_b32_e32 v5, v8, v7, vcc
	v_lshlrev_b32_e32 v5, 2, v5
	ds_bpermute_b32 v7, v5, v6
	v_cmp_lt_i32_e32 vcc, v10, v9
	v_xor_b32_e32 v12, 1, v8
	s_waitcnt lgkmcnt(0)
	v_add_f32_e32 v7, v6, v7
	v_cndmask_b32_e32 v6, v8, v10, vcc
	v_lshlrev_b32_e32 v6, 2, v6
	ds_bpermute_b32 v10, v6, v7
	v_cmp_lt_i32_e32 vcc, v11, v9
	s_waitcnt lgkmcnt(0)
	v_add_f32_e32 v10, v7, v10
	v_cndmask_b32_e32 v7, v8, v11, vcc
	v_lshlrev_b32_e32 v7, 2, v7
	ds_bpermute_b32 v11, v7, v10
	v_cmp_lt_i32_e32 vcc, v12, v9
	v_cndmask_b32_e32 v8, v8, v12, vcc
	v_lshlrev_b32_e32 v8, 2, v8
	v_and_b32_e32 v9, 31, v0
	s_waitcnt lgkmcnt(0)
	v_add_f32_e32 v11, v10, v11
	ds_bpermute_b32 v12, v8, v11
	v_cmp_eq_u32_e64 s[2:3], 0, v9
	v_lshrrev_b32_e32 v10, 3, v0
	s_and_saveexec_b64 s[6:7], s[2:3]
	s_cbranch_execz .LBB5_4
; %bb.3:
	s_waitcnt lgkmcnt(0)
	v_add_f32_e32 v11, v11, v12
	ds_write_b32 v10, v11
.LBB5_4:
	s_or_b64 exec, exec, s[6:7]
	s_waitcnt lgkmcnt(0)
	s_barrier
	s_load_dword s6, s[4:5], 0x3c
	v_mov_b32_e32 v12, 0
	v_lshlrev_b32_e32 v11, 2, v9
	s_waitcnt lgkmcnt(0)
	s_bfe_u32 s6, s6, 0xb0005
	v_cmp_gt_u32_e64 s[6:7], s6, v0
	s_and_saveexec_b64 s[8:9], s[6:7]
	s_cbranch_execz .LBB5_6
; %bb.5:
	ds_read_b32 v12, v11
.LBB5_6:
	s_or_b64 exec, exec, s[8:9]
	s_waitcnt lgkmcnt(0)
	ds_bpermute_b32 v9, v3, v12
	v_cmp_eq_u32_e64 s[8:9], 0, v0
	s_waitcnt lgkmcnt(0)
	v_add_f32_e32 v9, v12, v9
	ds_bpermute_b32 v12, v5, v9
	s_waitcnt lgkmcnt(0)
	v_add_f32_e32 v9, v9, v12
	ds_bpermute_b32 v12, v6, v9
	;; [unrolled: 3-line block ×4, first 2 shown]
	v_cvt_f32_i32_e32 v9, s13
	s_and_saveexec_b64 s[14:15], s[8:9]
	s_cbranch_execz .LBB5_8
; %bb.7:
	s_waitcnt lgkmcnt(0)
	v_add_f32_e32 v0, v12, v13
	v_div_scale_f32 v12, s[16:17], v9, v9, v0
	v_rcp_f32_e32 v13, v12
	v_div_scale_f32 v14, vcc, v0, v9, v0
	v_fma_f32 v15, -v12, v13, 1.0
	v_fmac_f32_e32 v13, v15, v13
	v_mul_f32_e32 v15, v14, v13
	v_fma_f32 v16, -v12, v15, v14
	v_fmac_f32_e32 v15, v16, v13
	v_fma_f32 v12, -v12, v15, v14
	v_div_fmas_f32 v12, v12, v13, v15
	v_div_fixup_f32 v0, v12, v9, v0
	v_mov_b32_e32 v12, 0
	ds_write_b32 v12, v0 offset:132
.LBB5_8:
	s_or_b64 exec, exec, s[14:15]
	v_mov_b32_e32 v0, 0
	s_waitcnt lgkmcnt(0)
	s_barrier
	ds_read_b32 v12, v0 offset:132
	s_waitcnt lgkmcnt(0)
	v_sub_f32_e32 v12, v4, v12
	v_mul_f32_e32 v12, v12, v12
	v_cndmask_b32_e64 v12, 0, v12, s[0:1]
	ds_bpermute_b32 v13, v3, v12
	s_waitcnt lgkmcnt(0)
	v_add_f32_e32 v12, v12, v13
	ds_bpermute_b32 v13, v5, v12
	s_waitcnt lgkmcnt(0)
	v_add_f32_e32 v12, v12, v13
	;; [unrolled: 3-line block ×4, first 2 shown]
	ds_bpermute_b32 v13, v8, v12
	s_and_saveexec_b64 s[14:15], s[2:3]
	s_cbranch_execz .LBB5_10
; %bb.9:
	s_waitcnt lgkmcnt(0)
	v_add_f32_e32 v12, v12, v13
	ds_write_b32 v10, v12
.LBB5_10:
	s_or_b64 exec, exec, s[14:15]
	s_waitcnt lgkmcnt(0)
	s_barrier
	s_and_saveexec_b64 s[2:3], s[6:7]
	s_cbranch_execz .LBB5_12
; %bb.11:
	ds_read_b32 v0, v11
.LBB5_12:
	s_or_b64 exec, exec, s[2:3]
	s_waitcnt lgkmcnt(0)
	ds_bpermute_b32 v3, v3, v0
	s_waitcnt lgkmcnt(0)
	v_add_f32_e32 v0, v0, v3
	ds_bpermute_b32 v3, v5, v0
	s_waitcnt lgkmcnt(0)
	v_add_f32_e32 v0, v0, v3
	;; [unrolled: 3-line block ×4, first 2 shown]
	ds_bpermute_b32 v3, v8, v0
	s_and_saveexec_b64 s[2:3], s[8:9]
	s_cbranch_execz .LBB5_14
; %bb.13:
	s_waitcnt lgkmcnt(0)
	v_add_f32_e32 v0, v0, v3
	v_div_scale_f32 v3, s[6:7], v9, v9, v0
	v_rcp_f32_e32 v5, v3
	v_div_scale_f32 v6, vcc, v0, v9, v0
	v_fma_f32 v7, -v3, v5, 1.0
	v_fmac_f32_e32 v5, v7, v5
	v_mul_f32_e32 v7, v6, v5
	v_fma_f32 v8, -v3, v7, v6
	v_fmac_f32_e32 v7, v8, v5
	v_fma_f32 v3, -v3, v7, v6
	v_div_fmas_f32 v3, v3, v5, v7
	v_div_fixup_f32 v0, v3, v9, v0
	v_add_f32_e32 v0, s12, v0
	v_mov_b32_e32 v3, 0
	ds_write_b32 v3, v0 offset:128
.LBB5_14:
	s_or_b64 exec, exec, s[2:3]
	s_waitcnt lgkmcnt(0)
	s_barrier
	s_and_saveexec_b64 s[2:3], s[0:1]
	s_cbranch_execz .LBB5_16
; %bb.15:
	s_load_dwordx4 s[0:3], s[4:5], 0x18
	v_mov_b32_e32 v3, 0
	s_waitcnt lgkmcnt(0)
	global_load_dword v5, v1, s[0:1]
	global_load_dword v6, v1, s[2:3]
	ds_read_b64 v[0:1], v3 offset:128
	s_mov_b32 s0, 0x800000
	v_lshlrev_b64 v[2:3], 2, v[2:3]
	s_waitcnt lgkmcnt(0)
	v_mul_f32_e32 v7, 0x4b800000, v0
	v_cmp_gt_f32_e32 vcc, s0, v0
	v_cndmask_b32_e32 v0, v0, v7, vcc
	v_rsq_f32_e32 v0, v0
	v_sub_f32_e32 v1, v4, v1
	v_mov_b32_e32 v7, s11
	v_mul_f32_e32 v4, 0x45800000, v0
	v_cndmask_b32_e32 v0, v0, v4, vcc
	v_mul_f32_e32 v0, v1, v0
	s_waitcnt vmcnt(0)
	v_fmac_f32_e32 v6, v5, v0
	v_add_co_u32_e32 v0, vcc, s10, v2
	v_addc_co_u32_e32 v1, vcc, v7, v3, vcc
	global_store_dword v[0:1], v6, off
.LBB5_16:
	s_endpgm
	.section	.rodata,"a",@progbits
	.p2align	6, 0x0
	.amdhsa_kernel _Z28addBiasResidualPostLayerNormIfLi1ELi32EEvPT_PKS0_S3_S3_S3_fi
		.amdhsa_group_segment_fixed_size 136
		.amdhsa_private_segment_fixed_size 0
		.amdhsa_kernarg_size 304
		.amdhsa_user_sgpr_count 6
		.amdhsa_user_sgpr_private_segment_buffer 1
		.amdhsa_user_sgpr_dispatch_ptr 0
		.amdhsa_user_sgpr_queue_ptr 0
		.amdhsa_user_sgpr_kernarg_segment_ptr 1
		.amdhsa_user_sgpr_dispatch_id 0
		.amdhsa_user_sgpr_flat_scratch_init 0
		.amdhsa_user_sgpr_kernarg_preload_length 0
		.amdhsa_user_sgpr_kernarg_preload_offset 0
		.amdhsa_user_sgpr_private_segment_size 0
		.amdhsa_uses_dynamic_stack 0
		.amdhsa_system_sgpr_private_segment_wavefront_offset 0
		.amdhsa_system_sgpr_workgroup_id_x 1
		.amdhsa_system_sgpr_workgroup_id_y 0
		.amdhsa_system_sgpr_workgroup_id_z 0
		.amdhsa_system_sgpr_workgroup_info 0
		.amdhsa_system_vgpr_workitem_id 0
		.amdhsa_next_free_vgpr 17
		.amdhsa_next_free_sgpr 20
		.amdhsa_accum_offset 20
		.amdhsa_reserve_vcc 1
		.amdhsa_reserve_flat_scratch 0
		.amdhsa_float_round_mode_32 0
		.amdhsa_float_round_mode_16_64 0
		.amdhsa_float_denorm_mode_32 3
		.amdhsa_float_denorm_mode_16_64 3
		.amdhsa_dx10_clamp 1
		.amdhsa_ieee_mode 1
		.amdhsa_fp16_overflow 0
		.amdhsa_tg_split 0
		.amdhsa_exception_fp_ieee_invalid_op 0
		.amdhsa_exception_fp_denorm_src 0
		.amdhsa_exception_fp_ieee_div_zero 0
		.amdhsa_exception_fp_ieee_overflow 0
		.amdhsa_exception_fp_ieee_underflow 0
		.amdhsa_exception_fp_ieee_inexact 0
		.amdhsa_exception_int_div_zero 0
	.end_amdhsa_kernel
	.section	.text._Z28addBiasResidualPostLayerNormIfLi1ELi32EEvPT_PKS0_S3_S3_S3_fi,"axG",@progbits,_Z28addBiasResidualPostLayerNormIfLi1ELi32EEvPT_PKS0_S3_S3_S3_fi,comdat
.Lfunc_end5:
	.size	_Z28addBiasResidualPostLayerNormIfLi1ELi32EEvPT_PKS0_S3_S3_S3_fi, .Lfunc_end5-_Z28addBiasResidualPostLayerNormIfLi1ELi32EEvPT_PKS0_S3_S3_S3_fi
                                        ; -- End function
	.section	.AMDGPU.csdata,"",@progbits
; Kernel info:
; codeLenInByte = 1128
; NumSgprs: 24
; NumVgprs: 17
; NumAgprs: 0
; TotalNumVgprs: 17
; ScratchSize: 0
; MemoryBound: 0
; FloatMode: 240
; IeeeMode: 1
; LDSByteSize: 136 bytes/workgroup (compile time only)
; SGPRBlocks: 2
; VGPRBlocks: 2
; NumSGPRsForWavesPerEU: 24
; NumVGPRsForWavesPerEU: 17
; AccumOffset: 20
; Occupancy: 8
; WaveLimiterHint : 0
; COMPUTE_PGM_RSRC2:SCRATCH_EN: 0
; COMPUTE_PGM_RSRC2:USER_SGPR: 6
; COMPUTE_PGM_RSRC2:TRAP_HANDLER: 0
; COMPUTE_PGM_RSRC2:TGID_X_EN: 1
; COMPUTE_PGM_RSRC2:TGID_Y_EN: 0
; COMPUTE_PGM_RSRC2:TGID_Z_EN: 0
; COMPUTE_PGM_RSRC2:TIDIG_COMP_CNT: 0
; COMPUTE_PGM_RSRC3_GFX90A:ACCUM_OFFSET: 4
; COMPUTE_PGM_RSRC3_GFX90A:TG_SPLIT: 0
	.section	.text._Z28addBiasResidualPostLayerNormIfLi2ELi32EEvPT_PKS0_S3_S3_S3_fi,"axG",@progbits,_Z28addBiasResidualPostLayerNormIfLi2ELi32EEvPT_PKS0_S3_S3_S3_fi,comdat
	.protected	_Z28addBiasResidualPostLayerNormIfLi2ELi32EEvPT_PKS0_S3_S3_S3_fi ; -- Begin function _Z28addBiasResidualPostLayerNormIfLi2ELi32EEvPT_PKS0_S3_S3_S3_fi
	.globl	_Z28addBiasResidualPostLayerNormIfLi2ELi32EEvPT_PKS0_S3_S3_S3_fi
	.p2align	8
	.type	_Z28addBiasResidualPostLayerNormIfLi2ELi32EEvPT_PKS0_S3_S3_S3_fi,@function
_Z28addBiasResidualPostLayerNormIfLi2ELi32EEvPT_PKS0_S3_S3_S3_fi: ; @_Z28addBiasResidualPostLayerNormIfLi2ELi32EEvPT_PKS0_S3_S3_S3_fi
; %bb.0:
	s_load_dwordx2 s[14:15], s[4:5], 0x28
	s_load_dwordx2 s[12:13], s[4:5], 0x0
	v_mov_b32_e32 v7, 0
	v_lshlrev_b32_e32 v6, 2, v0
                                        ; implicit-def: $vgpr4
	s_waitcnt lgkmcnt(0)
	s_mul_i32 s16, s6, s15
	v_cmp_gt_i32_e64 s[0:1], s15, v0
	v_add_u32_e32 v2, s16, v0
	s_and_saveexec_b64 s[2:3], s[0:1]
	s_cbranch_execz .LBB6_4
; %bb.1:
	s_load_dwordx4 s[8:11], s[4:5], 0x8
	s_load_dword s6, s[4:5], 0x3c
	v_mov_b32_e32 v3, 0
	v_lshlrev_b64 v[4:5], 2, v[2:3]
	v_mov_b32_e32 v1, s13
	v_add_co_u32_e32 v8, vcc, s12, v4
	v_addc_co_u32_e32 v9, vcc, v1, v5, vcc
	s_waitcnt lgkmcnt(0)
	v_mov_b32_e32 v1, s9
	v_add_co_u32_e32 v4, vcc, s8, v4
	global_load_dword v7, v[8:9], off
	v_addc_co_u32_e32 v5, vcc, v1, v5, vcc
	global_load_dword v8, v[4:5], off
	global_load_dword v9, v6, s[10:11]
	s_and_b32 s17, s6, 0xffff
	v_add_u32_e32 v1, s17, v0
	v_cmp_gt_u32_e32 vcc, s15, v1
	s_waitcnt vmcnt(1)
	v_add_f32_e32 v4, v7, v8
	s_waitcnt vmcnt(0)
	v_add_f32_e32 v4, v4, v9
	v_add_f32_e32 v7, 0, v4
	s_and_saveexec_b64 s[6:7], vcc
	s_cbranch_execz .LBB6_3
; %bb.2:
	v_mov_b32_e32 v5, s11
	v_add_co_u32_e32 v12, vcc, s10, v6
	v_add_u32_e32 v8, s16, v1
	v_mov_b32_e32 v9, v3
	v_addc_co_u32_e32 v5, vcc, 0, v5, vcc
	v_lshlrev_b64 v[8:9], 2, v[8:9]
	v_mov_b32_e32 v1, s13
	v_add_co_u32_e32 v10, vcc, s12, v8
	v_addc_co_u32_e32 v11, vcc, v1, v9, vcc
	v_mov_b32_e32 v3, s9
	v_add_co_u32_e32 v8, vcc, s8, v8
	v_addc_co_u32_e32 v9, vcc, v3, v9, vcc
	s_lshl_b32 s8, s17, 2
	global_load_dword v3, v[8:9], off
	v_add_co_u32_e32 v8, vcc, s8, v12
	global_load_dword v1, v[10:11], off
	v_addc_co_u32_e32 v9, vcc, 0, v5, vcc
	global_load_dword v5, v[8:9], off
	s_waitcnt vmcnt(1)
	v_add_f32_e32 v1, v1, v3
	s_waitcnt vmcnt(0)
	v_add_f32_e32 v5, v1, v5
	v_add_f32_e32 v7, v7, v5
.LBB6_3:
	s_or_b64 exec, exec, s[6:7]
.LBB6_4:
	s_or_b64 exec, exec, s[2:3]
	v_mbcnt_lo_u32_b32 v1, -1, 0
	v_mbcnt_hi_u32_b32 v10, -1, v1
	v_and_b32_e32 v1, 0x60, v10
	v_add_u32_e32 v12, 32, v1
	v_xor_b32_e32 v1, 16, v10
	v_cmp_lt_i32_e32 vcc, v1, v12
	v_cndmask_b32_e32 v1, v10, v1, vcc
	v_lshlrev_b32_e32 v1, 2, v1
	ds_bpermute_b32 v3, v1, v7
	v_xor_b32_e32 v8, 8, v10
	v_cmp_lt_i32_e32 vcc, v8, v12
	v_xor_b32_e32 v9, 4, v10
	v_xor_b32_e32 v11, 2, v10
	s_waitcnt lgkmcnt(0)
	v_add_f32_e32 v7, v7, v3
	v_cndmask_b32_e32 v3, v10, v8, vcc
	v_lshlrev_b32_e32 v3, 2, v3
	ds_bpermute_b32 v8, v3, v7
	v_cmp_lt_i32_e32 vcc, v9, v12
	v_xor_b32_e32 v13, 1, v10
	s_waitcnt lgkmcnt(0)
	v_add_f32_e32 v7, v7, v8
	v_cndmask_b32_e32 v8, v10, v9, vcc
	v_lshlrev_b32_e32 v8, 2, v8
	ds_bpermute_b32 v9, v8, v7
	v_cmp_lt_i32_e32 vcc, v11, v12
	s_waitcnt lgkmcnt(0)
	v_add_f32_e32 v7, v7, v9
	v_cndmask_b32_e32 v9, v10, v11, vcc
	v_lshlrev_b32_e32 v9, 2, v9
	ds_bpermute_b32 v11, v9, v7
	v_cmp_lt_i32_e32 vcc, v13, v12
	v_lshrrev_b32_e32 v12, 3, v0
	s_waitcnt lgkmcnt(0)
	v_add_f32_e32 v11, v7, v11
	v_cndmask_b32_e32 v7, v10, v13, vcc
	v_lshlrev_b32_e32 v10, 2, v7
	ds_bpermute_b32 v13, v10, v11
	v_and_b32_e32 v7, 31, v0
	v_cmp_eq_u32_e64 s[2:3], 0, v7
	s_and_saveexec_b64 s[6:7], s[2:3]
	s_cbranch_execz .LBB6_6
; %bb.5:
	s_waitcnt lgkmcnt(0)
	v_add_f32_e32 v11, v11, v13
	ds_write_b32 v12, v11
.LBB6_6:
	s_or_b64 exec, exec, s[6:7]
	s_waitcnt lgkmcnt(0)
	s_barrier
	s_load_dword s10, s[4:5], 0x3c
	v_mov_b32_e32 v11, 0
	v_lshlrev_b32_e32 v13, 2, v7
	s_waitcnt lgkmcnt(0)
	s_bfe_u32 s6, s10, 0xb0005
	v_cmp_gt_u32_e64 s[6:7], s6, v0
	s_and_saveexec_b64 s[8:9], s[6:7]
	s_cbranch_execz .LBB6_8
; %bb.7:
	ds_read_b32 v11, v13
.LBB6_8:
	s_or_b64 exec, exec, s[8:9]
	s_waitcnt lgkmcnt(0)
	ds_bpermute_b32 v7, v1, v11
	s_and_b32 s17, s10, 0xffff
	v_cmp_eq_u32_e64 s[8:9], 0, v0
	s_waitcnt lgkmcnt(0)
	v_add_f32_e32 v7, v11, v7
	ds_bpermute_b32 v11, v3, v7
	s_waitcnt lgkmcnt(0)
	v_add_f32_e32 v7, v7, v11
	ds_bpermute_b32 v11, v8, v7
	;; [unrolled: 3-line block ×4, first 2 shown]
	v_cvt_f32_i32_e32 v11, s15
	s_and_saveexec_b64 s[10:11], s[8:9]
	s_cbranch_execz .LBB6_10
; %bb.9:
	s_waitcnt lgkmcnt(0)
	v_add_f32_e32 v7, v7, v14
	v_div_scale_f32 v14, s[18:19], v11, v11, v7
	v_rcp_f32_e32 v15, v14
	v_div_scale_f32 v16, vcc, v7, v11, v7
	v_fma_f32 v17, -v14, v15, 1.0
	v_fmac_f32_e32 v15, v17, v15
	v_mul_f32_e32 v17, v16, v15
	v_fma_f32 v18, -v14, v17, v16
	v_fmac_f32_e32 v17, v18, v15
	v_fma_f32 v14, -v14, v17, v16
	v_div_fmas_f32 v14, v14, v15, v17
	v_div_fixup_f32 v7, v14, v11, v7
	v_mov_b32_e32 v14, 0
	ds_write_b32 v14, v7 offset:132
.LBB6_10:
	s_or_b64 exec, exec, s[10:11]
	s_waitcnt lgkmcnt(0)
	v_mov_b32_e32 v14, 0
	v_add_u32_e32 v7, s17, v0
	s_barrier
	s_and_saveexec_b64 s[10:11], s[0:1]
	s_cbranch_execz .LBB6_12
; %bb.11:
	v_mov_b32_e32 v0, 0
	ds_read_b32 v0, v0 offset:132
	v_cmp_gt_u32_e32 vcc, s15, v7
	s_waitcnt lgkmcnt(0)
	v_pk_add_f32 v[14:15], v[4:5], v[0:1] op_sel_hi:[1,0] neg_lo:[0,1] neg_hi:[0,1]
	v_pk_mul_f32 v[14:15], v[14:15], v[14:15]
	v_add_f32_e32 v0, v14, v15
	v_cndmask_b32_e32 v14, v14, v0, vcc
.LBB6_12:
	s_or_b64 exec, exec, s[10:11]
	ds_bpermute_b32 v0, v1, v14
	s_waitcnt lgkmcnt(0)
	v_add_f32_e32 v0, v14, v0
	ds_bpermute_b32 v14, v3, v0
	s_waitcnt lgkmcnt(0)
	v_add_f32_e32 v0, v0, v14
	;; [unrolled: 3-line block ×4, first 2 shown]
	ds_bpermute_b32 v14, v10, v0
	s_and_saveexec_b64 s[10:11], s[2:3]
	s_cbranch_execz .LBB6_14
; %bb.13:
	s_waitcnt lgkmcnt(0)
	v_add_f32_e32 v0, v0, v14
	ds_write_b32 v12, v0
.LBB6_14:
	s_or_b64 exec, exec, s[10:11]
	v_mov_b32_e32 v0, 0
	s_waitcnt lgkmcnt(0)
	s_barrier
	s_and_saveexec_b64 s[2:3], s[6:7]
	s_cbranch_execz .LBB6_16
; %bb.15:
	ds_read_b32 v0, v13
.LBB6_16:
	s_or_b64 exec, exec, s[2:3]
	s_waitcnt lgkmcnt(0)
	ds_bpermute_b32 v1, v1, v0
	s_waitcnt lgkmcnt(0)
	v_add_f32_e32 v0, v0, v1
	ds_bpermute_b32 v1, v3, v0
	s_waitcnt lgkmcnt(0)
	v_add_f32_e32 v0, v0, v1
	;; [unrolled: 3-line block ×4, first 2 shown]
	ds_bpermute_b32 v1, v10, v0
	s_and_saveexec_b64 s[2:3], s[8:9]
	s_cbranch_execz .LBB6_18
; %bb.17:
	s_waitcnt lgkmcnt(0)
	v_add_f32_e32 v0, v0, v1
	v_div_scale_f32 v1, s[6:7], v11, v11, v0
	v_rcp_f32_e32 v3, v1
	v_div_scale_f32 v8, vcc, v0, v11, v0
	v_fma_f32 v9, -v1, v3, 1.0
	v_fmac_f32_e32 v3, v9, v3
	v_mul_f32_e32 v9, v8, v3
	v_fma_f32 v10, -v1, v9, v8
	v_fmac_f32_e32 v9, v10, v3
	v_fma_f32 v1, -v1, v9, v8
	v_div_fmas_f32 v1, v1, v3, v9
	v_div_fixup_f32 v0, v1, v11, v0
	v_add_f32_e32 v0, s14, v0
	v_mov_b32_e32 v1, 0
	ds_write_b32 v1, v0 offset:128
.LBB6_18:
	s_or_b64 exec, exec, s[2:3]
	s_waitcnt lgkmcnt(0)
	s_barrier
	s_and_saveexec_b64 s[2:3], s[0:1]
	s_cbranch_execz .LBB6_21
; %bb.19:
	s_load_dwordx4 s[4:7], s[4:5], 0x18
	v_mov_b32_e32 v3, 0
	s_mov_b32 s0, 0x800000
	v_lshlrev_b64 v[8:9], 2, v[2:3]
	v_mov_b32_e32 v12, s13
	s_waitcnt lgkmcnt(0)
	global_load_dword v10, v6, s[4:5]
	global_load_dword v11, v6, s[6:7]
	ds_read_b64 v[0:1], v3 offset:128
	s_waitcnt lgkmcnt(0)
	v_mul_f32_e32 v2, 0x4b800000, v0
	v_cmp_gt_f32_e32 vcc, s0, v0
	v_cndmask_b32_e32 v0, v0, v2, vcc
	v_rsq_f32_e32 v0, v0
	v_sub_f32_e32 v2, v4, v1
	v_add_co_u32_e64 v8, s[0:1], s12, v8
	v_mul_f32_e32 v4, 0x45800000, v0
	v_cndmask_b32_e32 v0, v0, v4, vcc
	v_mul_f32_e32 v2, v2, v0
	v_addc_co_u32_e64 v9, s[0:1], v12, v9, s[0:1]
	v_cmp_gt_u32_e32 vcc, s15, v7
	s_waitcnt vmcnt(0)
	v_fmac_f32_e32 v11, v10, v2
	global_store_dword v[8:9], v11, off
	s_and_b64 exec, exec, vcc
	s_cbranch_execz .LBB6_21
; %bb.20:
	v_mov_b32_e32 v2, s5
	v_add_co_u32_e32 v4, vcc, s4, v6
	v_addc_co_u32_e32 v2, vcc, 0, v2, vcc
	v_mov_b32_e32 v8, s7
	v_add_co_u32_e32 v6, vcc, s6, v6
	v_addc_co_u32_e32 v10, vcc, 0, v8, vcc
	s_lshl_b32 s0, s17, 2
	v_add_co_u32_e32 v8, vcc, s0, v4
	v_addc_co_u32_e32 v9, vcc, 0, v2, vcc
	global_load_dword v4, v[8:9], off
	v_add_co_u32_e32 v8, vcc, s0, v6
	v_addc_co_u32_e32 v9, vcc, 0, v10, vcc
	global_load_dword v6, v[8:9], off
	v_sub_f32_e32 v1, v5, v1
	v_add_u32_e32 v2, s16, v7
	v_mul_f32_e32 v7, v1, v0
	v_lshlrev_b64 v[0:1], 2, v[2:3]
	v_mov_b32_e32 v5, s13
	v_add_co_u32_e32 v0, vcc, s12, v0
	v_addc_co_u32_e32 v1, vcc, v5, v1, vcc
	s_waitcnt vmcnt(0)
	v_fmac_f32_e32 v6, v4, v7
	global_store_dword v[0:1], v6, off
.LBB6_21:
	s_endpgm
	.section	.rodata,"a",@progbits
	.p2align	6, 0x0
	.amdhsa_kernel _Z28addBiasResidualPostLayerNormIfLi2ELi32EEvPT_PKS0_S3_S3_S3_fi
		.amdhsa_group_segment_fixed_size 136
		.amdhsa_private_segment_fixed_size 0
		.amdhsa_kernarg_size 304
		.amdhsa_user_sgpr_count 6
		.amdhsa_user_sgpr_private_segment_buffer 1
		.amdhsa_user_sgpr_dispatch_ptr 0
		.amdhsa_user_sgpr_queue_ptr 0
		.amdhsa_user_sgpr_kernarg_segment_ptr 1
		.amdhsa_user_sgpr_dispatch_id 0
		.amdhsa_user_sgpr_flat_scratch_init 0
		.amdhsa_user_sgpr_kernarg_preload_length 0
		.amdhsa_user_sgpr_kernarg_preload_offset 0
		.amdhsa_user_sgpr_private_segment_size 0
		.amdhsa_uses_dynamic_stack 0
		.amdhsa_system_sgpr_private_segment_wavefront_offset 0
		.amdhsa_system_sgpr_workgroup_id_x 1
		.amdhsa_system_sgpr_workgroup_id_y 0
		.amdhsa_system_sgpr_workgroup_id_z 0
		.amdhsa_system_sgpr_workgroup_info 0
		.amdhsa_system_vgpr_workitem_id 0
		.amdhsa_next_free_vgpr 19
		.amdhsa_next_free_sgpr 20
		.amdhsa_accum_offset 20
		.amdhsa_reserve_vcc 1
		.amdhsa_reserve_flat_scratch 0
		.amdhsa_float_round_mode_32 0
		.amdhsa_float_round_mode_16_64 0
		.amdhsa_float_denorm_mode_32 3
		.amdhsa_float_denorm_mode_16_64 3
		.amdhsa_dx10_clamp 1
		.amdhsa_ieee_mode 1
		.amdhsa_fp16_overflow 0
		.amdhsa_tg_split 0
		.amdhsa_exception_fp_ieee_invalid_op 0
		.amdhsa_exception_fp_denorm_src 0
		.amdhsa_exception_fp_ieee_div_zero 0
		.amdhsa_exception_fp_ieee_overflow 0
		.amdhsa_exception_fp_ieee_underflow 0
		.amdhsa_exception_fp_ieee_inexact 0
		.amdhsa_exception_int_div_zero 0
	.end_amdhsa_kernel
	.section	.text._Z28addBiasResidualPostLayerNormIfLi2ELi32EEvPT_PKS0_S3_S3_S3_fi,"axG",@progbits,_Z28addBiasResidualPostLayerNormIfLi2ELi32EEvPT_PKS0_S3_S3_S3_fi,comdat
.Lfunc_end6:
	.size	_Z28addBiasResidualPostLayerNormIfLi2ELi32EEvPT_PKS0_S3_S3_S3_fi, .Lfunc_end6-_Z28addBiasResidualPostLayerNormIfLi2ELi32EEvPT_PKS0_S3_S3_S3_fi
                                        ; -- End function
	.section	.AMDGPU.csdata,"",@progbits
; Kernel info:
; codeLenInByte = 1444
; NumSgprs: 24
; NumVgprs: 19
; NumAgprs: 0
; TotalNumVgprs: 19
; ScratchSize: 0
; MemoryBound: 0
; FloatMode: 240
; IeeeMode: 1
; LDSByteSize: 136 bytes/workgroup (compile time only)
; SGPRBlocks: 2
; VGPRBlocks: 2
; NumSGPRsForWavesPerEU: 24
; NumVGPRsForWavesPerEU: 19
; AccumOffset: 20
; Occupancy: 8
; WaveLimiterHint : 0
; COMPUTE_PGM_RSRC2:SCRATCH_EN: 0
; COMPUTE_PGM_RSRC2:USER_SGPR: 6
; COMPUTE_PGM_RSRC2:TRAP_HANDLER: 0
; COMPUTE_PGM_RSRC2:TGID_X_EN: 1
; COMPUTE_PGM_RSRC2:TGID_Y_EN: 0
; COMPUTE_PGM_RSRC2:TGID_Z_EN: 0
; COMPUTE_PGM_RSRC2:TIDIG_COMP_CNT: 0
; COMPUTE_PGM_RSRC3_GFX90A:ACCUM_OFFSET: 4
; COMPUTE_PGM_RSRC3_GFX90A:TG_SPLIT: 0
	.section	.text._Z35generalAddBiasResidualPostLayerNormIfLi32EEvPT_PKS0_S3_S3_S3_fi,"axG",@progbits,_Z35generalAddBiasResidualPostLayerNormIfLi32EEvPT_PKS0_S3_S3_S3_fi,comdat
	.protected	_Z35generalAddBiasResidualPostLayerNormIfLi32EEvPT_PKS0_S3_S3_S3_fi ; -- Begin function _Z35generalAddBiasResidualPostLayerNormIfLi32EEvPT_PKS0_S3_S3_S3_fi
	.globl	_Z35generalAddBiasResidualPostLayerNormIfLi32EEvPT_PKS0_S3_S3_S3_fi
	.p2align	8
	.type	_Z35generalAddBiasResidualPostLayerNormIfLi32EEvPT_PKS0_S3_S3_S3_fi,@function
_Z35generalAddBiasResidualPostLayerNormIfLi32EEvPT_PKS0_S3_S3_S3_fi: ; @_Z35generalAddBiasResidualPostLayerNormIfLi32EEvPT_PKS0_S3_S3_S3_fi
; %bb.0:
	s_load_dwordx2 s[18:19], s[4:5], 0x28
	s_load_dwordx2 s[16:17], s[4:5], 0x0
	s_load_dwordx4 s[8:11], s[4:5], 0x18
	v_mov_b32_e32 v4, 0
	s_waitcnt lgkmcnt(0)
	s_lshr_b32 s0, s19, 31
	s_add_i32 s0, s19, s0
	s_ashr_i32 s20, s0, 1
	v_cmp_gt_i32_e64 s[0:1], s20, v0
	s_mul_i32 s21, s6, s19
	s_and_saveexec_b64 s[2:3], s[0:1]
	s_cbranch_execz .LBB7_4
; %bb.1:
	s_load_dword s6, s[4:5], 0x3c
	s_load_dwordx4 s[12:15], s[4:5], 0x8
	v_lshlrev_b32_e32 v1, 3, v0
	s_mov_b32 s24, 0
	s_lshr_b32 s22, s21, 1
	s_waitcnt lgkmcnt(0)
	s_and_b32 s23, s6, 0xffff
	v_mov_b32_e32 v3, s15
	v_add_co_u32_e32 v2, vcc, s14, v1
	v_addc_co_u32_e32 v3, vcc, 0, v3, vcc
	s_lshl_b32 s14, s23, 3
	s_mov_b64 s[6:7], 0
	v_mov_b32_e32 v4, 0
	v_mov_b32_e32 v1, s17
	;; [unrolled: 1-line block ×5, first 2 shown]
.LBB7_2:                                ; =>This Inner Loop Header: Depth=1
	v_add_u32_e32 v8, s22, v7
	v_ashrrev_i32_e32 v9, 31, v8
	v_lshlrev_b64 v[8:9], 3, v[8:9]
	v_add_co_u32_e32 v10, vcc, s16, v8
	v_addc_co_u32_e32 v11, vcc, v1, v9, vcc
	v_add_co_u32_e32 v8, vcc, s12, v8
	v_addc_co_u32_e32 v9, vcc, v5, v9, vcc
	global_load_dwordx2 v[12:13], v[10:11], off
	global_load_dwordx2 v[14:15], v[8:9], off
	;; [unrolled: 1-line block ×3, first 2 shown]
	v_add_co_u32_e32 v2, vcc, s14, v2
	v_add_u32_e32 v7, s23, v7
	v_addc_co_u32_e32 v3, vcc, v3, v6, vcc
	v_cmp_le_i32_e32 vcc, s20, v7
	s_or_b64 s[6:7], vcc, s[6:7]
	s_waitcnt vmcnt(1)
	v_pk_add_f32 v[8:9], v[12:13], v[14:15]
	s_waitcnt vmcnt(0)
	v_pk_add_f32 v[8:9], v[16:17], v[8:9]
	v_add_f32_e32 v4, v4, v8
	v_add_f32_e32 v4, v4, v9
	global_store_dwordx2 v[10:11], v[8:9], off
	s_andn2_b64 exec, exec, s[6:7]
	s_cbranch_execnz .LBB7_2
; %bb.3:
	s_or_b64 exec, exec, s[6:7]
.LBB7_4:
	s_or_b64 exec, exec, s[2:3]
	v_mbcnt_lo_u32_b32 v1, -1, 0
	v_mbcnt_hi_u32_b32 v2, -1, v1
	v_and_b32_e32 v1, 0x60, v2
	v_add_u32_e32 v7, 32, v1
	v_xor_b32_e32 v1, 16, v2
	v_cmp_lt_i32_e32 vcc, v1, v7
	v_cndmask_b32_e32 v1, v2, v1, vcc
	v_lshlrev_b32_e32 v1, 2, v1
	ds_bpermute_b32 v3, v1, v4
	v_xor_b32_e32 v5, 8, v2
	v_cmp_lt_i32_e32 vcc, v5, v7
	v_xor_b32_e32 v6, 4, v2
	v_xor_b32_e32 v8, 2, v2
	s_waitcnt lgkmcnt(0)
	v_add_f32_e32 v3, v4, v3
	v_cndmask_b32_e32 v4, v2, v5, vcc
	v_lshlrev_b32_e32 v4, 2, v4
	ds_bpermute_b32 v5, v4, v3
	v_cmp_lt_i32_e32 vcc, v6, v7
	v_xor_b32_e32 v9, 1, v2
	s_waitcnt lgkmcnt(0)
	v_add_f32_e32 v3, v3, v5
	v_cndmask_b32_e32 v5, v2, v6, vcc
	v_lshlrev_b32_e32 v5, 2, v5
	ds_bpermute_b32 v6, v5, v3
	v_cmp_lt_i32_e32 vcc, v8, v7
	s_waitcnt lgkmcnt(0)
	v_add_f32_e32 v3, v3, v6
	v_cndmask_b32_e32 v6, v2, v8, vcc
	v_lshlrev_b32_e32 v6, 2, v6
	ds_bpermute_b32 v8, v6, v3
	v_cmp_lt_i32_e32 vcc, v9, v7
	v_cndmask_b32_e32 v2, v2, v9, vcc
	v_lshlrev_b32_e32 v7, 2, v2
	v_and_b32_e32 v2, 31, v0
	s_waitcnt lgkmcnt(0)
	v_add_f32_e32 v3, v3, v8
	ds_bpermute_b32 v8, v7, v3
	v_cmp_eq_u32_e64 s[2:3], 0, v2
	v_lshrrev_b32_e32 v9, 3, v0
	s_and_saveexec_b64 s[6:7], s[2:3]
	s_cbranch_execz .LBB7_6
; %bb.5:
	s_waitcnt lgkmcnt(0)
	v_add_f32_e32 v3, v3, v8
	ds_write_b32 v9, v3
.LBB7_6:
	s_or_b64 exec, exec, s[6:7]
	s_waitcnt lgkmcnt(0)
	s_barrier
	s_load_dword s14, s[4:5], 0x3c
	v_mov_b32_e32 v3, 0
	v_lshlrev_b32_e32 v10, 2, v2
	s_waitcnt lgkmcnt(0)
	s_bfe_u32 s4, s14, 0xb0005
	v_cmp_gt_u32_e64 s[4:5], s4, v0
	s_and_saveexec_b64 s[6:7], s[4:5]
	s_cbranch_execz .LBB7_8
; %bb.7:
	ds_read_b32 v3, v10
.LBB7_8:
	s_or_b64 exec, exec, s[6:7]
	s_waitcnt lgkmcnt(0)
	ds_bpermute_b32 v2, v1, v3
	v_cvt_f32_i32_e32 v8, s19
	v_cmp_eq_u32_e64 s[6:7], 0, v0
	s_waitcnt lgkmcnt(0)
	v_add_f32_e32 v2, v3, v2
	ds_bpermute_b32 v3, v4, v2
	s_waitcnt lgkmcnt(0)
	v_add_f32_e32 v2, v2, v3
	ds_bpermute_b32 v3, v5, v2
	;; [unrolled: 3-line block ×4, first 2 shown]
	s_and_saveexec_b64 s[12:13], s[6:7]
	s_cbranch_execz .LBB7_10
; %bb.9:
	s_waitcnt lgkmcnt(0)
	v_add_f32_e32 v2, v2, v3
	v_div_scale_f32 v3, s[22:23], v8, v8, v2
	v_rcp_f32_e32 v11, v3
	v_div_scale_f32 v12, vcc, v2, v8, v2
	v_fma_f32 v13, -v3, v11, 1.0
	v_fmac_f32_e32 v11, v13, v11
	v_mul_f32_e32 v13, v12, v11
	v_fma_f32 v14, -v3, v13, v12
	v_fmac_f32_e32 v13, v14, v11
	v_fma_f32 v3, -v3, v13, v12
	v_div_fmas_f32 v3, v3, v11, v13
	v_div_fixup_f32 v2, v3, v8, v2
	v_mov_b32_e32 v3, 0
	ds_write_b32 v3, v2 offset:132
.LBB7_10:
	s_or_b64 exec, exec, s[12:13]
	s_and_b32 s19, s14, 0xffff
	v_mov_b32_e32 v11, 0
	s_waitcnt lgkmcnt(0)
	s_barrier
	s_and_saveexec_b64 s[12:13], s[0:1]
	s_cbranch_execz .LBB7_14
; %bb.11:
	v_mov_b32_e32 v11, 0
	ds_read_b32 v2, v11 offset:132
	s_lshr_b32 s22, s21, 1
	s_mov_b64 s[14:15], 0
	v_mov_b32_e32 v12, s17
	v_mov_b32_e32 v13, v0
	s_waitcnt lgkmcnt(0)
	v_mov_b32_e32 v3, v2
.LBB7_12:                               ; =>This Inner Loop Header: Depth=1
	v_add_u32_e32 v14, s22, v13
	v_ashrrev_i32_e32 v15, 31, v14
	v_lshlrev_b64 v[14:15], 3, v[14:15]
	v_add_co_u32_e32 v14, vcc, s16, v14
	v_addc_co_u32_e32 v15, vcc, v12, v15, vcc
	global_load_dwordx2 v[14:15], v[14:15], off
	v_add_u32_e32 v13, s19, v13
	v_cmp_le_i32_e32 vcc, s20, v13
	s_or_b64 s[14:15], vcc, s[14:15]
	s_waitcnt vmcnt(0)
	v_pk_add_f32 v[14:15], v[14:15], v[2:3] neg_lo:[0,1] neg_hi:[0,1]
	v_pk_mul_f32 v[14:15], v[14:15], v[14:15]
	v_add_f32_e32 v11, v11, v14
	v_add_f32_e32 v11, v15, v11
	s_andn2_b64 exec, exec, s[14:15]
	s_cbranch_execnz .LBB7_12
; %bb.13:
	s_or_b64 exec, exec, s[14:15]
.LBB7_14:
	s_or_b64 exec, exec, s[12:13]
	ds_bpermute_b32 v2, v1, v11
	s_waitcnt lgkmcnt(0)
	v_add_f32_e32 v2, v11, v2
	ds_bpermute_b32 v3, v4, v2
	s_waitcnt lgkmcnt(0)
	v_add_f32_e32 v2, v2, v3
	;; [unrolled: 3-line block ×4, first 2 shown]
	ds_bpermute_b32 v3, v7, v2
	s_and_saveexec_b64 s[12:13], s[2:3]
	s_cbranch_execz .LBB7_16
; %bb.15:
	s_waitcnt lgkmcnt(0)
	v_add_f32_e32 v2, v2, v3
	ds_write_b32 v9, v2
.LBB7_16:
	s_or_b64 exec, exec, s[12:13]
	v_mov_b32_e32 v2, 0
	s_waitcnt lgkmcnt(0)
	s_barrier
	s_and_saveexec_b64 s[2:3], s[4:5]
	s_cbranch_execz .LBB7_18
; %bb.17:
	ds_read_b32 v2, v10
.LBB7_18:
	s_or_b64 exec, exec, s[2:3]
	s_waitcnt lgkmcnt(0)
	ds_bpermute_b32 v1, v1, v2
	s_waitcnt lgkmcnt(0)
	v_add_f32_e32 v1, v2, v1
	ds_bpermute_b32 v2, v4, v1
	s_waitcnt lgkmcnt(0)
	v_add_f32_e32 v1, v1, v2
	;; [unrolled: 3-line block ×4, first 2 shown]
	ds_bpermute_b32 v2, v7, v1
	s_and_saveexec_b64 s[2:3], s[6:7]
	s_cbranch_execz .LBB7_20
; %bb.19:
	s_waitcnt lgkmcnt(0)
	v_add_f32_e32 v1, v1, v2
	v_div_scale_f32 v2, s[4:5], v8, v8, v1
	v_rcp_f32_e32 v3, v2
	v_div_scale_f32 v4, vcc, v1, v8, v1
	s_mov_b32 s4, 0x800000
	v_fma_f32 v5, -v2, v3, 1.0
	v_fmac_f32_e32 v3, v5, v3
	v_mul_f32_e32 v5, v4, v3
	v_fma_f32 v6, -v2, v5, v4
	v_fmac_f32_e32 v5, v6, v3
	v_fma_f32 v2, -v2, v5, v4
	v_div_fmas_f32 v2, v2, v3, v5
	v_div_fixup_f32 v1, v2, v8, v1
	v_add_f32_e32 v1, s18, v1
	v_mul_f32_e32 v2, 0x4b800000, v1
	v_cmp_gt_f32_e32 vcc, s4, v1
	v_cndmask_b32_e32 v1, v1, v2, vcc
	v_rsq_f32_e32 v1, v1
	v_mul_f32_e32 v2, 0x45800000, v1
	v_cndmask_b32_e32 v1, v1, v2, vcc
	v_mov_b32_e32 v2, 0
	ds_write_b32 v2, v1 offset:128
.LBB7_20:
	s_or_b64 exec, exec, s[2:3]
	s_waitcnt lgkmcnt(0)
	s_barrier
	s_and_saveexec_b64 s[2:3], s[0:1]
	s_cbranch_execz .LBB7_30
; %bb.21:
	v_cvt_f32_u32_e32 v1, s19
	v_add_u32_e32 v4, s19, v0
	v_mov_b32_e32 v6, s19
	v_cmp_gt_i32_e64 s[0:1], s20, v4
	v_rcp_iflag_f32_e32 v1, v1
	s_sub_i32 s2, 0, s19
	v_max_i32_e32 v7, s20, v4
	v_addc_co_u32_e64 v4, vcc, v0, v6, s[0:1]
	v_mul_f32_e32 v1, 0x4f7ffffe, v1
	v_cvt_u32_f32_e32 v1, v1
	v_sub_u32_e32 v4, v7, v4
	v_mov_b32_e32 v5, 0
	ds_read_b64 v[2:3], v5 offset:128
	v_mul_lo_u32 v6, s2, v1
	v_mul_hi_u32 v6, v1, v6
	v_add_u32_e32 v1, v1, v6
	v_mul_hi_u32 v1, v4, v1
	v_mul_lo_u32 v6, v1, s19
	v_sub_u32_e32 v4, v4, v6
	v_add_u32_e32 v6, 1, v1
	v_cmp_le_u32_e32 vcc, s19, v4
	v_cndmask_b32_e32 v1, v1, v6, vcc
	v_subrev_u32_e32 v6, s19, v4
	v_cndmask_b32_e32 v4, v4, v6, vcc
	v_add_u32_e32 v6, 1, v1
	v_cmp_le_u32_e32 vcc, s19, v4
	v_cndmask_b32_e32 v1, v1, v6, vcc
	v_addc_co_u32_e64 v12, vcc, 1, v1, s[0:1]
	s_lshr_b32 s12, s21, 1
	v_cmp_gt_u32_e32 vcc, 48, v12
	v_cmp_lt_u32_e64 s[2:3], 47, v12
	s_and_saveexec_b64 s[6:7], s[2:3]
	s_cbranch_execz .LBB7_27
; %bb.22:
	v_addc_co_u32_e64 v4, s[0:1], 0, v1, s[0:1]
	v_add_u32_e32 v6, s12, v0
	v_add_u32_e32 v1, v6, v4
	v_ashrrev_i32_e32 v7, 31, v6
	v_cmp_ge_i32_e64 s[0:1], v1, v6
	v_lshlrev_b64 v[6:7], 3, v[6:7]
	v_mov_b32_e32 v1, s17
	v_add_co_u32_e64 v6, s[2:3], s16, v6
	v_addc_co_u32_e64 v7, s[2:3], v1, v7, s[2:3]
	v_add_co_u32_e64 v8, s[2:3], 4, v6
	v_addc_co_u32_e64 v9, s[2:3], 0, v7, s[2:3]
	v_lshlrev_b64 v[4:5], 3, v[4:5]
	v_add_co_u32_e64 v4, s[2:3], v6, v4
	v_addc_co_u32_e64 v5, s[2:3], v7, v5, s[2:3]
	s_cmp_eq_u32 s19, 1
	v_add_co_u32_e64 v10, s[2:3], 4, v4
	s_cselect_b64 s[14:15], -1, 0
	v_addc_co_u32_e64 v11, s[2:3], 0, v5, s[2:3]
	v_cmp_ge_u64_e64 s[2:3], v[10:11], v[8:9]
	s_and_b64 s[0:1], s[14:15], s[0:1]
	v_cmp_ge_u64_e64 s[4:5], v[4:5], v[6:7]
	s_and_b64 s[0:1], s[0:1], s[2:3]
	s_and_b64 s[4:5], s[0:1], s[4:5]
	s_mov_b64 s[0:1], -1
	s_and_saveexec_b64 s[2:3], s[4:5]
	s_cbranch_execz .LBB7_26
; %bb.23:
	v_and_b32_e32 v13, -2, v12
	v_add_u32_e32 v1, 1, v0
	s_mov_b32 s13, s12
	s_waitcnt lgkmcnt(0)
	v_mov_b32_e32 v4, v3
	v_mov_b32_e32 v5, v3
	;; [unrolled: 1-line block ×4, first 2 shown]
	s_mov_b64 s[4:5], 0
	v_mov_b32_e32 v14, s17
	v_mov_b32_e32 v15, s9
	;; [unrolled: 1-line block ×5, first 2 shown]
	v_pk_mov_b32 v[10:11], v[0:1], v[0:1] op_sel:[0,1]
.LBB7_24:                               ; =>This Inner Loop Header: Depth=1
	v_mov_b32_e32 v8, v10
	v_lshlrev_b64 v[22:23], 3, v[8:9]
	v_add_co_u32_e64 v24, s[0:1], s8, v22
	v_add_u32_e32 v18, s12, v10
	v_addc_co_u32_e64 v25, s[0:1], v15, v23, s[0:1]
	v_ashrrev_i32_e32 v19, 31, v18
	v_add_co_u32_e64 v22, s[0:1], s10, v22
	v_add_u32_e32 v20, s13, v11
	v_lshlrev_b64 v[18:19], 3, v[18:19]
	v_addc_co_u32_e64 v23, s[0:1], v16, v23, s[0:1]
	v_ashrrev_i32_e32 v21, 31, v20
	v_add_co_u32_e64 v18, s[0:1], s16, v18
	v_lshlrev_b64 v[20:21], 3, v[20:21]
	v_addc_co_u32_e64 v19, s[0:1], v14, v19, s[0:1]
	v_mov_b32_e32 v8, v11
	v_add_co_u32_e64 v20, s[0:1], s16, v20
	v_lshlrev_b64 v[26:27], 3, v[8:9]
	v_addc_co_u32_e64 v21, s[0:1], v14, v21, s[0:1]
	v_add_co_u32_e64 v28, s[0:1], s8, v26
	v_addc_co_u32_e64 v29, s[0:1], v15, v27, s[0:1]
	v_add_co_u32_e64 v26, s[0:1], s10, v26
	global_load_dwordx2 v[24:25], v[24:25], off
	v_addc_co_u32_e64 v27, s[0:1], v16, v27, s[0:1]
	global_load_dwordx2 v[30:31], v[22:23], off
	global_load_dwordx2 v[32:33], v[18:19], off
	global_load_dwordx2 v[34:35], v[20:21], off
	global_load_dwordx2 v[36:37], v[28:29], off
	global_load_dwordx2 v[38:39], v[26:27], off
	v_add_u32_e32 v17, -2, v17
	v_cmp_eq_u32_e64 s[0:1], 0, v17
	v_add_u32_e32 v10, 2, v10
	v_add_u32_e32 v11, 2, v11
	s_or_b64 s[4:5], s[0:1], s[4:5]
	s_waitcnt vmcnt(5)
	v_mov_b32_e32 v22, v24
	s_waitcnt vmcnt(3)
	v_mov_b32_e32 v26, v32
	;; [unrolled: 2-line block ×3, first 2 shown]
	v_mov_b32_e32 v34, v33
	v_pk_add_f32 v[26:27], v[26:27], v[4:5] neg_lo:[0,1] neg_hi:[0,1]
	v_pk_add_f32 v[28:29], v[34:35], v[4:5] neg_lo:[0,1] neg_hi:[0,1]
	v_mov_b32_e32 v24, v30
	s_waitcnt vmcnt(1)
	v_mov_b32_e32 v23, v36
	v_mov_b32_e32 v36, v25
	s_waitcnt vmcnt(0)
	v_mov_b32_e32 v25, v38
	v_mov_b32_e32 v38, v31
	v_pk_mul_f32 v[26:27], v[26:27], v[6:7]
	v_pk_mul_f32 v[28:29], v[28:29], v[6:7]
	v_pk_fma_f32 v[22:23], v[22:23], v[26:27], v[24:25]
	v_pk_fma_f32 v[24:25], v[36:37], v[28:29], v[38:39]
	v_mov_b32_e32 v26, v22
	v_mov_b32_e32 v27, v24
	;; [unrolled: 1-line block ×3, first 2 shown]
	global_store_dwordx2 v[18:19], v[26:27], off
	global_store_dwordx2 v[20:21], v[24:25], off
	s_andn2_b64 exec, exec, s[4:5]
	s_cbranch_execnz .LBB7_24
; %bb.25:
	s_or_b64 exec, exec, s[4:5]
	v_cmp_ne_u32_e64 s[0:1], v12, v13
	v_add_u32_e32 v0, v0, v13
	s_orn2_b64 s[0:1], s[0:1], exec
.LBB7_26:
	s_or_b64 exec, exec, s[2:3]
	s_andn2_b64 s[2:3], vcc, exec
	s_and_b64 s[0:1], s[0:1], exec
	s_or_b64 vcc, s[2:3], s[0:1]
.LBB7_27:
	s_or_b64 exec, exec, s[6:7]
	s_and_b64 exec, exec, vcc
	s_cbranch_execz .LBB7_30
; %bb.28:
	s_mov_b32 s3, 0
	v_mov_b32_e32 v1, 0
	s_waitcnt lgkmcnt(0)
	v_mov_b32_e32 v4, v3
	v_mov_b32_e32 v5, v3
	;; [unrolled: 1-line block ×3, first 2 shown]
	v_lshlrev_b64 v[6:7], 3, v[0:1]
	s_lshl_b32 s2, s19, 3
	s_mov_b64 s[0:1], 0
	v_mov_b32_e32 v1, s17
	v_mov_b32_e32 v8, s9
	;; [unrolled: 1-line block ×4, first 2 shown]
.LBB7_29:                               ; =>This Inner Loop Header: Depth=1
	v_add_co_u32_e32 v14, vcc, s8, v6
	v_add_u32_e32 v12, s12, v0
	v_addc_co_u32_e32 v15, vcc, v8, v7, vcc
	v_add_co_u32_e32 v16, vcc, s10, v6
	v_ashrrev_i32_e32 v13, 31, v12
	v_addc_co_u32_e32 v17, vcc, v9, v7, vcc
	v_lshlrev_b64 v[12:13], 3, v[12:13]
	v_add_co_u32_e32 v12, vcc, s16, v12
	v_addc_co_u32_e32 v13, vcc, v1, v13, vcc
	global_load_dwordx2 v[18:19], v[12:13], off
	global_load_dwordx2 v[20:21], v[14:15], off
	global_load_dwordx2 v[22:23], v[16:17], off
	v_add_co_u32_e32 v6, vcc, s2, v6
	v_add_u32_e32 v0, s19, v0
	v_addc_co_u32_e32 v7, vcc, v7, v10, vcc
	v_cmp_le_i32_e32 vcc, s20, v0
	s_or_b64 s[0:1], vcc, s[0:1]
	s_waitcnt vmcnt(2)
	v_pk_add_f32 v[14:15], v[18:19], v[4:5] neg_lo:[0,1] neg_hi:[0,1]
	v_pk_mul_f32 v[14:15], v[14:15], v[2:3]
	s_waitcnt vmcnt(0)
	v_pk_fma_f32 v[14:15], v[20:21], v[14:15], v[22:23]
	global_store_dwordx2 v[12:13], v[14:15], off
	s_andn2_b64 exec, exec, s[0:1]
	s_cbranch_execnz .LBB7_29
.LBB7_30:
	s_endpgm
	.section	.rodata,"a",@progbits
	.p2align	6, 0x0
	.amdhsa_kernel _Z35generalAddBiasResidualPostLayerNormIfLi32EEvPT_PKS0_S3_S3_S3_fi
		.amdhsa_group_segment_fixed_size 136
		.amdhsa_private_segment_fixed_size 0
		.amdhsa_kernarg_size 304
		.amdhsa_user_sgpr_count 6
		.amdhsa_user_sgpr_private_segment_buffer 1
		.amdhsa_user_sgpr_dispatch_ptr 0
		.amdhsa_user_sgpr_queue_ptr 0
		.amdhsa_user_sgpr_kernarg_segment_ptr 1
		.amdhsa_user_sgpr_dispatch_id 0
		.amdhsa_user_sgpr_flat_scratch_init 0
		.amdhsa_user_sgpr_kernarg_preload_length 0
		.amdhsa_user_sgpr_kernarg_preload_offset 0
		.amdhsa_user_sgpr_private_segment_size 0
		.amdhsa_uses_dynamic_stack 0
		.amdhsa_system_sgpr_private_segment_wavefront_offset 0
		.amdhsa_system_sgpr_workgroup_id_x 1
		.amdhsa_system_sgpr_workgroup_id_y 0
		.amdhsa_system_sgpr_workgroup_id_z 0
		.amdhsa_system_sgpr_workgroup_info 0
		.amdhsa_system_vgpr_workitem_id 0
		.amdhsa_next_free_vgpr 40
		.amdhsa_next_free_sgpr 25
		.amdhsa_accum_offset 40
		.amdhsa_reserve_vcc 1
		.amdhsa_reserve_flat_scratch 0
		.amdhsa_float_round_mode_32 0
		.amdhsa_float_round_mode_16_64 0
		.amdhsa_float_denorm_mode_32 3
		.amdhsa_float_denorm_mode_16_64 3
		.amdhsa_dx10_clamp 1
		.amdhsa_ieee_mode 1
		.amdhsa_fp16_overflow 0
		.amdhsa_tg_split 0
		.amdhsa_exception_fp_ieee_invalid_op 0
		.amdhsa_exception_fp_denorm_src 0
		.amdhsa_exception_fp_ieee_div_zero 0
		.amdhsa_exception_fp_ieee_overflow 0
		.amdhsa_exception_fp_ieee_underflow 0
		.amdhsa_exception_fp_ieee_inexact 0
		.amdhsa_exception_int_div_zero 0
	.end_amdhsa_kernel
	.section	.text._Z35generalAddBiasResidualPostLayerNormIfLi32EEvPT_PKS0_S3_S3_S3_fi,"axG",@progbits,_Z35generalAddBiasResidualPostLayerNormIfLi32EEvPT_PKS0_S3_S3_S3_fi,comdat
.Lfunc_end7:
	.size	_Z35generalAddBiasResidualPostLayerNormIfLi32EEvPT_PKS0_S3_S3_S3_fi, .Lfunc_end7-_Z35generalAddBiasResidualPostLayerNormIfLi32EEvPT_PKS0_S3_S3_S3_fi
                                        ; -- End function
	.section	.AMDGPU.csdata,"",@progbits
; Kernel info:
; codeLenInByte = 2280
; NumSgprs: 29
; NumVgprs: 40
; NumAgprs: 0
; TotalNumVgprs: 40
; ScratchSize: 0
; MemoryBound: 0
; FloatMode: 240
; IeeeMode: 1
; LDSByteSize: 136 bytes/workgroup (compile time only)
; SGPRBlocks: 3
; VGPRBlocks: 4
; NumSGPRsForWavesPerEU: 29
; NumVGPRsForWavesPerEU: 40
; AccumOffset: 40
; Occupancy: 8
; WaveLimiterHint : 0
; COMPUTE_PGM_RSRC2:SCRATCH_EN: 0
; COMPUTE_PGM_RSRC2:USER_SGPR: 6
; COMPUTE_PGM_RSRC2:TRAP_HANDLER: 0
; COMPUTE_PGM_RSRC2:TGID_X_EN: 1
; COMPUTE_PGM_RSRC2:TGID_Y_EN: 0
; COMPUTE_PGM_RSRC2:TGID_Z_EN: 0
; COMPUTE_PGM_RSRC2:TIDIG_COMP_CNT: 0
; COMPUTE_PGM_RSRC3_GFX90A:ACCUM_OFFSET: 9
; COMPUTE_PGM_RSRC3_GFX90A:TG_SPLIT: 0
	.section	.text._Z30addBiasResidualPostLayerNormV2I6__halfLi64EEvPT_PKS1_S4_S4_S4_fi,"axG",@progbits,_Z30addBiasResidualPostLayerNormV2I6__halfLi64EEvPT_PKS1_S4_S4_S4_fi,comdat
	.protected	_Z30addBiasResidualPostLayerNormV2I6__halfLi64EEvPT_PKS1_S4_S4_S4_fi ; -- Begin function _Z30addBiasResidualPostLayerNormV2I6__halfLi64EEvPT_PKS1_S4_S4_S4_fi
	.globl	_Z30addBiasResidualPostLayerNormV2I6__halfLi64EEvPT_PKS1_S4_S4_S4_fi
	.p2align	8
	.type	_Z30addBiasResidualPostLayerNormV2I6__halfLi64EEvPT_PKS1_S4_S4_S4_fi,@function
_Z30addBiasResidualPostLayerNormV2I6__halfLi64EEvPT_PKS1_S4_S4_S4_fi: ; @_Z30addBiasResidualPostLayerNormV2I6__halfLi64EEvPT_PKS1_S4_S4_S4_fi
; %bb.0:
	s_load_dwordx2 s[16:17], s[4:5], 0x28
	s_load_dword s7, s[4:5], 0x3c
	s_load_dwordx4 s[8:11], s[4:5], 0x0
	s_load_dwordx2 s[0:1], s[4:5], 0x10
	s_add_u32 s2, s4, 48
	s_waitcnt lgkmcnt(0)
	s_mul_i32 s6, s6, s17
	s_addc_u32 s3, s5, 0
	s_lshr_b32 s12, s6, 31
	s_add_i32 s6, s6, s12
	s_ashr_i32 s6, s6, 1
	v_add_u32_e32 v4, s6, v0
	v_ashrrev_i32_e32 v5, 31, v4
	v_lshlrev_b64 v[6:7], 2, v[4:5]
	v_mov_b32_e32 v5, s9
	v_add_co_u32_e32 v2, vcc, s8, v6
	v_addc_co_u32_e32 v3, vcc, v5, v7, vcc
	v_mov_b32_e32 v15, s11
	v_add_co_u32_e32 v6, vcc, s10, v6
	v_addc_co_u32_e32 v7, vcc, v15, v7, vcc
	v_lshlrev_b32_e32 v1, 2, v0
	s_and_b32 s7, s7, 0xffff
	global_load_dword v16, v[6:7], off
	v_mov_b32_e32 v6, s1
	v_add_co_u32_e32 v12, vcc, s0, v1
	v_addc_co_u32_e32 v13, vcc, 0, v6, vcc
	v_add_u32_e32 v6, s7, v4
	v_ashrrev_i32_e32 v7, 31, v6
	v_lshlrev_b64 v[8:9], 2, v[6:7]
	v_add_co_u32_e32 v10, vcc, s8, v8
	v_addc_co_u32_e32 v11, vcc, v5, v9, vcc
	v_add_co_u32_e32 v8, vcc, s10, v8
	global_load_dword v17, v1, s[0:1]
	v_addc_co_u32_e32 v9, vcc, v15, v9, vcc
	s_lshl_b32 s0, s7, 2
	v_add_u32_e32 v6, s7, v6
	global_load_dword v19, v[8:9], off
	v_add_co_u32_e32 v8, vcc, s0, v12
	v_ashrrev_i32_e32 v7, 31, v6
	global_load_dword v18, v[10:11], off
	v_addc_co_u32_e32 v9, vcc, 0, v13, vcc
	v_lshlrev_b64 v[10:11], 2, v[6:7]
	v_add_co_u32_e32 v12, vcc, s8, v10
	v_addc_co_u32_e32 v13, vcc, v5, v11, vcc
	v_add_co_u32_e32 v10, vcc, s10, v10
	v_addc_co_u32_e32 v11, vcc, v15, v11, vcc
	v_add_u32_e32 v6, s7, v6
	global_load_dword v20, v[8:9], off
	v_add_co_u32_e32 v8, vcc, s0, v8
	v_ashrrev_i32_e32 v7, 31, v6
	v_addc_co_u32_e32 v9, vcc, 0, v9, vcc
	v_lshlrev_b64 v[6:7], 2, v[6:7]
	global_load_dword v12, v[12:13], off
	s_nop 0
	global_load_dword v13, v[10:11], off
	v_add_co_u32_e32 v10, vcc, s8, v6
	global_load_dword v14, v[2:3], off
	v_addc_co_u32_e32 v11, vcc, v5, v7, vcc
	v_add_co_u32_e32 v6, vcc, s10, v6
	v_addc_co_u32_e32 v7, vcc, v15, v7, vcc
	global_load_dword v21, v[8:9], off
	s_waitcnt vmcnt(1)
	v_pk_add_f16 v5, v14, v16
	global_load_dword v10, v[10:11], off
	v_pk_add_f16 v15, v5, v17
	global_load_dword v11, v[6:7], off
	v_add_co_u32_e32 v6, vcc, s0, v8
	v_addc_co_u32_e32 v7, vcc, 0, v9, vcc
	global_load_dword v7, v[6:7], off
	v_pk_add_f16 v5, v18, v19
	v_pk_add_f16 v6, v15, 0
	;; [unrolled: 1-line block ×5, first 2 shown]
	s_waitcnt vmcnt(3)
	v_pk_add_f16 v6, v8, v21
	v_pk_add_f16 v8, v9, v6
	s_waitcnt vmcnt(1)
	v_pk_add_f16 v9, v10, v11
	s_waitcnt vmcnt(0)
	v_pk_add_f16 v7, v9, v7
	v_pk_add_f16 v8, v8, v7
	v_add_f16_sdwa v8, v8, v8 dst_sel:DWORD dst_unused:UNUSED_PAD src0_sel:DWORD src1_sel:WORD_1
	v_cvt_f32_f16_e32 v9, v8
	v_mbcnt_lo_u32_b32 v8, -1, 0
	v_mbcnt_hi_u32_b32 v13, -1, v8
	v_and_b32_e32 v8, 64, v13
	v_add_u32_e32 v14, 64, v8
	v_xor_b32_e32 v8, 32, v13
	v_cmp_lt_i32_e32 vcc, v8, v14
	v_cndmask_b32_e32 v8, v13, v8, vcc
	v_lshlrev_b32_e32 v8, 2, v8
	ds_bpermute_b32 v10, v8, v9
	s_waitcnt lgkmcnt(0)
	v_add_f32_e32 v10, v9, v10
	v_xor_b32_e32 v9, 16, v13
	v_cmp_lt_i32_e32 vcc, v9, v14
	v_cndmask_b32_e32 v9, v13, v9, vcc
	v_lshlrev_b32_e32 v9, 2, v9
	ds_bpermute_b32 v11, v9, v10
	s_waitcnt lgkmcnt(0)
	v_add_f32_e32 v11, v10, v11
	;; [unrolled: 7-line block ×5, first 2 shown]
	v_xor_b32_e32 v16, 1, v13
	v_cmp_lt_i32_e32 vcc, v16, v14
	v_cndmask_b32_e32 v13, v13, v16, vcc
	v_lshlrev_b32_e32 v13, 2, v13
	ds_bpermute_b32 v18, v13, v17
	v_and_b32_e32 v14, 63, v0
	v_cmp_eq_u32_e64 s[0:1], 0, v14
	v_lshrrev_b32_e32 v16, 4, v0
	s_and_saveexec_b64 s[6:7], s[0:1]
	s_cbranch_execz .LBB8_2
; %bb.1:
	s_waitcnt lgkmcnt(0)
	v_add_f32_e32 v17, v17, v18
	ds_write_b32 v16, v17
.LBB8_2:
	s_or_b64 exec, exec, s[6:7]
	s_waitcnt lgkmcnt(0)
	s_barrier
	s_load_dword s18, s[2:3], 0xc
	v_mov_b32_e32 v18, 0
	v_lshlrev_b32_e32 v17, 2, v14
	s_waitcnt lgkmcnt(0)
	s_bfe_u32 s2, s18, 0xa0006
	v_cmp_gt_u32_e64 s[2:3], s2, v0
	s_and_saveexec_b64 s[6:7], s[2:3]
	s_cbranch_execz .LBB8_4
; %bb.3:
	ds_read_b32 v18, v17
.LBB8_4:
	s_or_b64 exec, exec, s[6:7]
	s_waitcnt lgkmcnt(0)
	ds_bpermute_b32 v14, v8, v18
	v_cmp_eq_u32_e64 s[6:7], 0, v0
	s_waitcnt lgkmcnt(0)
	v_add_f32_e32 v14, v18, v14
	ds_bpermute_b32 v18, v9, v14
	s_waitcnt lgkmcnt(0)
	v_add_f32_e32 v14, v14, v18
	ds_bpermute_b32 v18, v10, v14
	;; [unrolled: 3-line block ×5, first 2 shown]
	v_cvt_f32_i32_e32 v14, s17
	s_and_saveexec_b64 s[10:11], s[6:7]
	s_cbranch_execz .LBB8_6
; %bb.5:
	s_waitcnt lgkmcnt(0)
	v_add_f32_e32 v0, v18, v19
	v_div_scale_f32 v18, s[12:13], v14, v14, v0
	v_rcp_f32_e32 v19, v18
	v_div_scale_f32 v20, vcc, v0, v14, v0
	v_fma_f32 v21, -v18, v19, 1.0
	v_fmac_f32_e32 v19, v21, v19
	v_mul_f32_e32 v21, v20, v19
	v_fma_f32 v22, -v18, v21, v20
	v_fmac_f32_e32 v21, v22, v19
	v_fma_f32 v18, -v18, v21, v20
	v_div_fmas_f32 v18, v18, v19, v21
	v_div_fixup_f32 v0, v18, v14, v0
	v_mov_b32_e32 v18, 0
	ds_write_b32 v18, v0 offset:68
.LBB8_6:
	s_or_b64 exec, exec, s[10:11]
	v_mov_b32_e32 v18, 0
	s_waitcnt lgkmcnt(0)
	s_barrier
	ds_read_b32 v0, v18 offset:68
	s_waitcnt lgkmcnt(0)
	v_cvt_f16_f32_e32 v19, v0
	v_pk_add_f16 v0, v15, v19 op_sel_hi:[1,0] neg_lo:[0,1] neg_hi:[0,1]
	v_pk_add_f16 v5, v5, v19 op_sel_hi:[1,0] neg_lo:[0,1] neg_hi:[0,1]
	v_cvt_f32_f16_sdwa v15, v0 dst_sel:DWORD dst_unused:UNUSED_PAD src0_sel:WORD_1
	v_cvt_f32_f16_sdwa v20, v5 dst_sel:DWORD dst_unused:UNUSED_PAD src0_sel:WORD_1
	v_pk_add_f16 v6, v6, v19 op_sel_hi:[1,0] neg_lo:[0,1] neg_hi:[0,1]
	v_pk_add_f16 v7, v7, v19 op_sel_hi:[1,0] neg_lo:[0,1] neg_hi:[0,1]
	v_cvt_f32_f16_sdwa v19, v6 dst_sel:DWORD dst_unused:UNUSED_PAD src0_sel:WORD_1
	v_mul_f32_e32 v15, v15, v15
	v_mul_f32_e32 v20, v20, v20
	v_fma_mix_f32 v15, v0, v0, v15 op_sel_hi:[1,1,0]
	v_fma_mix_f32 v20, v5, v5, v20 op_sel_hi:[1,1,0]
	v_add_f32_e32 v15, v15, v20
	v_cvt_f32_f16_sdwa v20, v7 dst_sel:DWORD dst_unused:UNUSED_PAD src0_sel:WORD_1
	v_mul_f32_e32 v19, v19, v19
	v_fma_mix_f32 v19, v6, v6, v19 op_sel_hi:[1,1,0]
	v_add_f32_e32 v15, v15, v19
	v_mul_f32_e32 v19, v20, v20
	v_fma_mix_f32 v19, v7, v7, v19 op_sel_hi:[1,1,0]
	v_add_f32_e32 v15, v15, v19
	ds_bpermute_b32 v19, v8, v15
	s_waitcnt lgkmcnt(0)
	v_add_f32_e32 v15, v15, v19
	ds_bpermute_b32 v19, v9, v15
	s_waitcnt lgkmcnt(0)
	;; [unrolled: 3-line block ×5, first 2 shown]
	v_add_f32_e32 v15, v15, v19
	ds_bpermute_b32 v19, v13, v15
	s_and_saveexec_b64 s[10:11], s[0:1]
	s_cbranch_execz .LBB8_8
; %bb.7:
	s_waitcnt lgkmcnt(0)
	v_add_f32_e32 v15, v15, v19
	ds_write_b32 v16, v15
.LBB8_8:
	s_or_b64 exec, exec, s[10:11]
	s_load_dwordx4 s[12:15], s[4:5], 0x18
	s_waitcnt lgkmcnt(0)
	s_barrier
	s_and_saveexec_b64 s[0:1], s[2:3]
	s_cbranch_execz .LBB8_10
; %bb.9:
	ds_read_b32 v18, v17
.LBB8_10:
	s_or_b64 exec, exec, s[0:1]
	s_waitcnt lgkmcnt(0)
	ds_bpermute_b32 v8, v8, v18
	s_and_b32 s2, s18, 0xffff
	s_waitcnt lgkmcnt(0)
	v_add_f32_e32 v8, v18, v8
	ds_bpermute_b32 v9, v9, v8
	s_waitcnt lgkmcnt(0)
	v_add_f32_e32 v8, v8, v9
	ds_bpermute_b32 v9, v10, v8
	;; [unrolled: 3-line block ×5, first 2 shown]
	s_and_saveexec_b64 s[0:1], s[6:7]
	s_cbranch_execz .LBB8_12
; %bb.11:
	s_waitcnt lgkmcnt(0)
	v_add_f32_e32 v8, v8, v9
	v_div_scale_f32 v9, s[4:5], v14, v14, v8
	v_rcp_f32_e32 v10, v9
	v_div_scale_f32 v11, vcc, v8, v14, v8
	s_mov_b32 s3, 0x800000
	v_fma_f32 v12, -v9, v10, 1.0
	v_fmac_f32_e32 v10, v12, v10
	v_mul_f32_e32 v12, v11, v10
	v_fma_f32 v13, -v9, v12, v11
	v_fmac_f32_e32 v12, v13, v10
	v_fma_f32 v9, -v9, v12, v11
	v_div_fmas_f32 v9, v9, v10, v12
	v_div_fixup_f32 v8, v9, v14, v8
	v_add_f32_e32 v8, s16, v8
	v_mul_f32_e32 v9, 0x4b800000, v8
	v_cmp_gt_f32_e32 vcc, s3, v8
	v_cndmask_b32_e32 v8, v8, v9, vcc
	v_rsq_f32_e32 v8, v8
	v_mul_f32_e32 v9, 0x45800000, v8
	v_cndmask_b32_e32 v8, v8, v9, vcc
	v_mov_b32_e32 v9, 0
	ds_write_b32 v9, v8 offset:64
.LBB8_12:
	s_or_b64 exec, exec, s[0:1]
	v_mov_b32_e32 v8, s13
	s_waitcnt lgkmcnt(0)
	v_add_co_u32_e32 v9, vcc, s12, v1
	v_addc_co_u32_e32 v10, vcc, 0, v8, vcc
	v_mov_b32_e32 v8, s15
	v_add_co_u32_e32 v11, vcc, s14, v1
	v_addc_co_u32_e32 v12, vcc, 0, v8, vcc
	s_lshl_b32 s0, s2, 2
	v_add_co_u32_e32 v8, vcc, s0, v9
	v_addc_co_u32_e32 v9, vcc, 0, v10, vcc
	v_add_co_u32_e32 v10, vcc, s0, v11
	v_addc_co_u32_e32 v11, vcc, 0, v12, vcc
	s_barrier
	global_load_dword v14, v1, s[12:13]
	global_load_dword v15, v1, s[14:15]
	global_load_dword v16, v[10:11], off
	s_nop 0
	global_load_dword v1, v[8:9], off
	v_add_co_u32_e32 v8, vcc, s0, v8
	v_addc_co_u32_e32 v9, vcc, 0, v9, vcc
	v_add_co_u32_e32 v10, vcc, s0, v10
	v_addc_co_u32_e32 v11, vcc, 0, v11, vcc
	global_load_dword v17, v[8:9], off
	v_add_co_u32_e32 v8, vcc, s0, v8
	v_addc_co_u32_e32 v9, vcc, 0, v9, vcc
	global_load_dword v18, v[10:11], off
	global_load_dword v19, v[8:9], off
	v_add_co_u32_e32 v8, vcc, s0, v10
	v_addc_co_u32_e32 v9, vcc, 0, v11, vcc
	global_load_dword v20, v[8:9], off
	v_mov_b32_e32 v9, 0
	ds_read_b32 v21, v9 offset:64
	v_add_u32_e32 v8, s2, v4
	v_ashrrev_i32_e32 v9, 31, v8
	v_add_u32_e32 v10, s2, v8
	v_lshlrev_b64 v[8:9], 2, v[8:9]
	s_waitcnt lgkmcnt(0)
	v_cvt_f16_f32_e32 v21, v21
	v_mov_b32_e32 v4, s9
	v_ashrrev_i32_e32 v11, 31, v10
	v_add_co_u32_e32 v8, vcc, s8, v8
	v_pk_mul_f16 v0, v21, v0 op_sel_hi:[0,1]
	v_add_u32_e32 v12, s2, v10
	v_addc_co_u32_e32 v9, vcc, v4, v9, vcc
	v_lshlrev_b64 v[10:11], 2, v[10:11]
	v_pk_mul_f16 v5, v21, v5 op_sel_hi:[0,1]
	v_ashrrev_i32_e32 v13, 31, v12
	v_add_co_u32_e32 v10, vcc, s8, v10
	v_pk_mul_f16 v6, v21, v6 op_sel_hi:[0,1]
	v_addc_co_u32_e32 v11, vcc, v4, v11, vcc
	v_lshlrev_b64 v[12:13], 2, v[12:13]
	v_pk_mul_f16 v7, v21, v7 op_sel_hi:[0,1]
	s_waitcnt vmcnt(6)
	v_pk_fma_f16 v0, v0, v14, v15
	global_store_dword v[2:3], v0, off
	s_waitcnt vmcnt(5)
	v_pk_fma_f16 v0, v5, v1, v16
	global_store_dword v[8:9], v0, off
	s_waitcnt vmcnt(4)
	v_pk_fma_f16 v0, v6, v17, v18
	global_store_dword v[10:11], v0, off
	v_add_co_u32_e32 v0, vcc, s8, v12
	v_addc_co_u32_e32 v1, vcc, v4, v13, vcc
	s_waitcnt vmcnt(3)
	v_pk_fma_f16 v2, v7, v19, v20
	global_store_dword v[0:1], v2, off
	s_endpgm
	.section	.rodata,"a",@progbits
	.p2align	6, 0x0
	.amdhsa_kernel _Z30addBiasResidualPostLayerNormV2I6__halfLi64EEvPT_PKS1_S4_S4_S4_fi
		.amdhsa_group_segment_fixed_size 72
		.amdhsa_private_segment_fixed_size 0
		.amdhsa_kernarg_size 304
		.amdhsa_user_sgpr_count 6
		.amdhsa_user_sgpr_private_segment_buffer 1
		.amdhsa_user_sgpr_dispatch_ptr 0
		.amdhsa_user_sgpr_queue_ptr 0
		.amdhsa_user_sgpr_kernarg_segment_ptr 1
		.amdhsa_user_sgpr_dispatch_id 0
		.amdhsa_user_sgpr_flat_scratch_init 0
		.amdhsa_user_sgpr_kernarg_preload_length 0
		.amdhsa_user_sgpr_kernarg_preload_offset 0
		.amdhsa_user_sgpr_private_segment_size 0
		.amdhsa_uses_dynamic_stack 0
		.amdhsa_system_sgpr_private_segment_wavefront_offset 0
		.amdhsa_system_sgpr_workgroup_id_x 1
		.amdhsa_system_sgpr_workgroup_id_y 0
		.amdhsa_system_sgpr_workgroup_id_z 0
		.amdhsa_system_sgpr_workgroup_info 0
		.amdhsa_system_vgpr_workitem_id 0
		.amdhsa_next_free_vgpr 23
		.amdhsa_next_free_sgpr 19
		.amdhsa_accum_offset 24
		.amdhsa_reserve_vcc 1
		.amdhsa_reserve_flat_scratch 0
		.amdhsa_float_round_mode_32 0
		.amdhsa_float_round_mode_16_64 0
		.amdhsa_float_denorm_mode_32 3
		.amdhsa_float_denorm_mode_16_64 3
		.amdhsa_dx10_clamp 1
		.amdhsa_ieee_mode 1
		.amdhsa_fp16_overflow 0
		.amdhsa_tg_split 0
		.amdhsa_exception_fp_ieee_invalid_op 0
		.amdhsa_exception_fp_denorm_src 0
		.amdhsa_exception_fp_ieee_div_zero 0
		.amdhsa_exception_fp_ieee_overflow 0
		.amdhsa_exception_fp_ieee_underflow 0
		.amdhsa_exception_fp_ieee_inexact 0
		.amdhsa_exception_int_div_zero 0
	.end_amdhsa_kernel
	.section	.text._Z30addBiasResidualPostLayerNormV2I6__halfLi64EEvPT_PKS1_S4_S4_S4_fi,"axG",@progbits,_Z30addBiasResidualPostLayerNormV2I6__halfLi64EEvPT_PKS1_S4_S4_S4_fi,comdat
.Lfunc_end8:
	.size	_Z30addBiasResidualPostLayerNormV2I6__halfLi64EEvPT_PKS1_S4_S4_S4_fi, .Lfunc_end8-_Z30addBiasResidualPostLayerNormV2I6__halfLi64EEvPT_PKS1_S4_S4_S4_fi
                                        ; -- End function
	.section	.AMDGPU.csdata,"",@progbits
; Kernel info:
; codeLenInByte = 1912
; NumSgprs: 23
; NumVgprs: 23
; NumAgprs: 0
; TotalNumVgprs: 23
; ScratchSize: 0
; MemoryBound: 0
; FloatMode: 240
; IeeeMode: 1
; LDSByteSize: 72 bytes/workgroup (compile time only)
; SGPRBlocks: 2
; VGPRBlocks: 2
; NumSGPRsForWavesPerEU: 23
; NumVGPRsForWavesPerEU: 23
; AccumOffset: 24
; Occupancy: 8
; WaveLimiterHint : 0
; COMPUTE_PGM_RSRC2:SCRATCH_EN: 0
; COMPUTE_PGM_RSRC2:USER_SGPR: 6
; COMPUTE_PGM_RSRC2:TRAP_HANDLER: 0
; COMPUTE_PGM_RSRC2:TGID_X_EN: 1
; COMPUTE_PGM_RSRC2:TGID_Y_EN: 0
; COMPUTE_PGM_RSRC2:TGID_Z_EN: 0
; COMPUTE_PGM_RSRC2:TIDIG_COMP_CNT: 0
; COMPUTE_PGM_RSRC3_GFX90A:ACCUM_OFFSET: 5
; COMPUTE_PGM_RSRC3_GFX90A:TG_SPLIT: 0
	.section	.text._Z30addBiasResidualPostLayerNormV2I6__halfLi32EEvPT_PKS1_S4_S4_S4_fi,"axG",@progbits,_Z30addBiasResidualPostLayerNormV2I6__halfLi32EEvPT_PKS1_S4_S4_S4_fi,comdat
	.protected	_Z30addBiasResidualPostLayerNormV2I6__halfLi32EEvPT_PKS1_S4_S4_S4_fi ; -- Begin function _Z30addBiasResidualPostLayerNormV2I6__halfLi32EEvPT_PKS1_S4_S4_S4_fi
	.globl	_Z30addBiasResidualPostLayerNormV2I6__halfLi32EEvPT_PKS1_S4_S4_S4_fi
	.p2align	8
	.type	_Z30addBiasResidualPostLayerNormV2I6__halfLi32EEvPT_PKS1_S4_S4_S4_fi,@function
_Z30addBiasResidualPostLayerNormV2I6__halfLi32EEvPT_PKS1_S4_S4_S4_fi: ; @_Z30addBiasResidualPostLayerNormV2I6__halfLi32EEvPT_PKS1_S4_S4_S4_fi
; %bb.0:
	s_load_dword s7, s[4:5], 0x3c
	s_load_dwordx2 s[12:13], s[4:5], 0x28
	s_load_dwordx4 s[0:3], s[4:5], 0x0
	s_load_dwordx2 s[8:9], s[4:5], 0x10
	v_lshlrev_b32_e32 v1, 2, v0
	s_waitcnt lgkmcnt(0)
	s_and_b32 s7, s7, 0xffff
	s_mul_i32 s6, s6, s13
	s_lshr_b32 s10, s6, 31
	s_add_i32 s6, s6, s10
	s_ashr_i32 s6, s6, 1
	v_add_u32_e32 v4, s6, v0
	v_ashrrev_i32_e32 v5, 31, v4
	v_lshlrev_b64 v[6:7], 2, v[4:5]
	v_mov_b32_e32 v14, s1
	v_add_co_u32_e32 v2, vcc, s0, v6
	v_addc_co_u32_e32 v3, vcc, v14, v7, vcc
	v_mov_b32_e32 v15, s3
	v_add_co_u32_e32 v6, vcc, s2, v6
	v_addc_co_u32_e32 v7, vcc, v15, v7, vcc
	global_load_dword v16, v[6:7], off
	v_add_u32_e32 v6, s7, v4
	v_mov_b32_e32 v5, s9
	v_add_co_u32_e32 v10, vcc, s8, v1
	v_ashrrev_i32_e32 v7, 31, v6
	v_addc_co_u32_e32 v11, vcc, 0, v5, vcc
	v_lshlrev_b64 v[8:9], 2, v[6:7]
	v_add_co_u32_e32 v4, vcc, s0, v8
	v_addc_co_u32_e32 v5, vcc, v14, v9, vcc
	v_add_co_u32_e32 v8, vcc, s2, v8
	v_addc_co_u32_e32 v9, vcc, v15, v9, vcc
	s_lshl_b32 s14, s7, 2
	global_load_dword v18, v[8:9], off
	v_add_co_u32_e32 v8, vcc, s14, v10
	v_add_u32_e32 v10, s7, v6
	v_addc_co_u32_e32 v9, vcc, 0, v11, vcc
	v_ashrrev_i32_e32 v11, 31, v10
	v_lshlrev_b64 v[12:13], 2, v[10:11]
	v_add_co_u32_e32 v6, vcc, s0, v12
	v_addc_co_u32_e32 v7, vcc, v14, v13, vcc
	v_add_co_u32_e32 v12, vcc, s2, v12
	v_addc_co_u32_e32 v13, vcc, v15, v13, vcc
	global_load_dword v20, v[8:9], off
	global_load_dword v21, v[12:13], off
	v_add_co_u32_e32 v12, vcc, s14, v8
	v_add_u32_e32 v8, s7, v10
	v_addc_co_u32_e32 v13, vcc, 0, v9, vcc
	v_ashrrev_i32_e32 v9, 31, v8
	v_lshlrev_b64 v[10:11], 2, v[8:9]
	v_add_co_u32_e32 v8, vcc, s0, v10
	v_addc_co_u32_e32 v9, vcc, v14, v11, vcc
	v_add_co_u32_e32 v10, vcc, s2, v10
	global_load_dword v17, v1, s[8:9]
	v_addc_co_u32_e32 v11, vcc, v15, v11, vcc
	global_load_dword v22, v[12:13], off
	global_load_dword v14, v[2:3], off
	;; [unrolled: 1-line block ×6, first 2 shown]
	v_add_co_u32_e32 v10, vcc, s14, v12
	v_addc_co_u32_e32 v11, vcc, 0, v13, vcc
	global_load_dword v10, v[10:11], off
	s_waitcnt vmcnt(5)
	v_pk_add_f16 v11, v14, v16
	v_pk_add_f16 v19, v11, v17
	s_waitcnt vmcnt(4)
	v_pk_add_f16 v11, v23, v18
	v_pk_add_f16 v12, v19, 0
	v_pk_add_f16 v11, v11, v20
	s_waitcnt vmcnt(3)
	v_pk_add_f16 v13, v24, v21
	;; [unrolled: 4-line block ×3, first 2 shown]
	v_pk_add_f16 v12, v12, v13
	s_waitcnt vmcnt(0)
	v_pk_add_f16 v15, v14, v10
	v_pk_add_f16 v10, v12, v15
	v_add_f16_sdwa v10, v10, v10 dst_sel:DWORD dst_unused:UNUSED_PAD src0_sel:DWORD src1_sel:WORD_1
	v_cvt_f32_f16_e32 v12, v10
	v_mbcnt_lo_u32_b32 v10, -1, 0
	v_mbcnt_hi_u32_b32 v17, -1, v10
	v_and_b32_e32 v10, 0x60, v17
	v_add_u32_e32 v18, 32, v10
	v_xor_b32_e32 v10, 16, v17
	v_cmp_lt_i32_e32 vcc, v10, v18
	v_cndmask_b32_e32 v10, v17, v10, vcc
	v_lshlrev_b32_e32 v10, 2, v10
	ds_bpermute_b32 v14, v10, v12
	s_waitcnt lgkmcnt(0)
	v_add_f32_e32 v14, v12, v14
	v_xor_b32_e32 v12, 8, v17
	v_cmp_lt_i32_e32 vcc, v12, v18
	v_cndmask_b32_e32 v12, v17, v12, vcc
	v_lshlrev_b32_e32 v12, 2, v12
	ds_bpermute_b32 v16, v12, v14
	s_waitcnt lgkmcnt(0)
	v_add_f32_e32 v16, v14, v16
	;; [unrolled: 7-line block ×4, first 2 shown]
	v_xor_b32_e32 v20, 1, v17
	v_cmp_lt_i32_e32 vcc, v20, v18
	v_cndmask_b32_e32 v17, v17, v20, vcc
	v_lshlrev_b32_e32 v17, 2, v17
	ds_bpermute_b32 v22, v17, v21
	v_and_b32_e32 v18, 31, v0
	v_cmp_eq_u32_e64 s[2:3], 0, v18
	v_lshrrev_b32_e32 v20, 3, v0
	s_and_saveexec_b64 s[0:1], s[2:3]
	s_cbranch_execz .LBB9_2
; %bb.1:
	s_waitcnt lgkmcnt(0)
	v_add_f32_e32 v21, v21, v22
	ds_write_b32 v20, v21
.LBB9_2:
	s_or_b64 exec, exec, s[0:1]
	s_lshr_b32 s0, s7, 5
	v_cmp_gt_u32_e64 s[0:1], s0, v0
	s_waitcnt lgkmcnt(0)
	v_mov_b32_e32 v22, 0
	v_lshlrev_b32_e32 v21, 2, v18
	s_barrier
	s_and_saveexec_b64 s[6:7], s[0:1]
	s_cbranch_execz .LBB9_4
; %bb.3:
	ds_read_b32 v22, v21
.LBB9_4:
	s_or_b64 exec, exec, s[6:7]
	s_waitcnt lgkmcnt(0)
	ds_bpermute_b32 v18, v10, v22
	v_cmp_eq_u32_e64 s[6:7], 0, v0
	s_waitcnt lgkmcnt(0)
	v_add_f32_e32 v18, v22, v18
	ds_bpermute_b32 v22, v12, v18
	s_waitcnt lgkmcnt(0)
	v_add_f32_e32 v18, v18, v22
	ds_bpermute_b32 v22, v14, v18
	;; [unrolled: 3-line block ×4, first 2 shown]
	v_cvt_f32_i32_e32 v18, s13
	s_and_saveexec_b64 s[8:9], s[6:7]
	s_cbranch_execz .LBB9_6
; %bb.5:
	s_waitcnt lgkmcnt(0)
	v_add_f32_e32 v0, v22, v23
	v_div_scale_f32 v22, s[10:11], v18, v18, v0
	v_rcp_f32_e32 v23, v22
	v_div_scale_f32 v24, vcc, v0, v18, v0
	v_fma_f32 v25, -v22, v23, 1.0
	v_fmac_f32_e32 v23, v25, v23
	v_mul_f32_e32 v25, v24, v23
	v_fma_f32 v26, -v22, v25, v24
	v_fmac_f32_e32 v25, v26, v23
	v_fma_f32 v22, -v22, v25, v24
	v_div_fmas_f32 v22, v22, v23, v25
	v_div_fixup_f32 v0, v22, v18, v0
	v_mov_b32_e32 v22, 0
	ds_write_b32 v22, v0 offset:132
.LBB9_6:
	s_or_b64 exec, exec, s[8:9]
	v_mov_b32_e32 v22, 0
	s_waitcnt lgkmcnt(0)
	s_barrier
	ds_read_b32 v0, v22 offset:132
	s_waitcnt lgkmcnt(0)
	v_cvt_f16_f32_e32 v23, v0
	v_pk_add_f16 v0, v19, v23 op_sel_hi:[1,0] neg_lo:[0,1] neg_hi:[0,1]
	v_pk_add_f16 v11, v11, v23 op_sel_hi:[1,0] neg_lo:[0,1] neg_hi:[0,1]
	v_cvt_f32_f16_sdwa v19, v0 dst_sel:DWORD dst_unused:UNUSED_PAD src0_sel:WORD_1
	v_cvt_f32_f16_sdwa v24, v11 dst_sel:DWORD dst_unused:UNUSED_PAD src0_sel:WORD_1
	v_pk_add_f16 v13, v13, v23 op_sel_hi:[1,0] neg_lo:[0,1] neg_hi:[0,1]
	v_pk_add_f16 v15, v15, v23 op_sel_hi:[1,0] neg_lo:[0,1] neg_hi:[0,1]
	v_cvt_f32_f16_sdwa v23, v13 dst_sel:DWORD dst_unused:UNUSED_PAD src0_sel:WORD_1
	v_mul_f32_e32 v19, v19, v19
	v_mul_f32_e32 v24, v24, v24
	v_fma_mix_f32 v19, v0, v0, v19 op_sel_hi:[1,1,0]
	v_fma_mix_f32 v24, v11, v11, v24 op_sel_hi:[1,1,0]
	v_add_f32_e32 v19, v19, v24
	v_cvt_f32_f16_sdwa v24, v15 dst_sel:DWORD dst_unused:UNUSED_PAD src0_sel:WORD_1
	v_mul_f32_e32 v23, v23, v23
	v_fma_mix_f32 v23, v13, v13, v23 op_sel_hi:[1,1,0]
	v_add_f32_e32 v19, v19, v23
	v_mul_f32_e32 v23, v24, v24
	v_fma_mix_f32 v23, v15, v15, v23 op_sel_hi:[1,1,0]
	v_add_f32_e32 v19, v19, v23
	ds_bpermute_b32 v23, v10, v19
	s_waitcnt lgkmcnt(0)
	v_add_f32_e32 v19, v19, v23
	ds_bpermute_b32 v23, v12, v19
	s_waitcnt lgkmcnt(0)
	;; [unrolled: 3-line block ×4, first 2 shown]
	v_add_f32_e32 v19, v19, v23
	ds_bpermute_b32 v23, v17, v19
	s_and_saveexec_b64 s[8:9], s[2:3]
	s_cbranch_execz .LBB9_8
; %bb.7:
	s_waitcnt lgkmcnt(0)
	v_add_f32_e32 v19, v19, v23
	ds_write_b32 v20, v19
.LBB9_8:
	s_or_b64 exec, exec, s[8:9]
	s_load_dwordx4 s[8:11], s[4:5], 0x18
	s_waitcnt lgkmcnt(0)
	s_barrier
	s_and_saveexec_b64 s[2:3], s[0:1]
	s_cbranch_execz .LBB9_10
; %bb.9:
	ds_read_b32 v22, v21
.LBB9_10:
	s_or_b64 exec, exec, s[2:3]
	s_waitcnt lgkmcnt(0)
	ds_bpermute_b32 v10, v10, v22
	s_waitcnt lgkmcnt(0)
	v_add_f32_e32 v10, v22, v10
	ds_bpermute_b32 v12, v12, v10
	s_waitcnt lgkmcnt(0)
	v_add_f32_e32 v10, v10, v12
	;; [unrolled: 3-line block ×4, first 2 shown]
	ds_bpermute_b32 v12, v17, v10
	s_and_saveexec_b64 s[0:1], s[6:7]
	s_cbranch_execz .LBB9_12
; %bb.11:
	s_waitcnt lgkmcnt(0)
	v_add_f32_e32 v10, v10, v12
	v_div_scale_f32 v12, s[2:3], v18, v18, v10
	v_rcp_f32_e32 v14, v12
	v_div_scale_f32 v16, vcc, v10, v18, v10
	s_mov_b32 s2, 0x800000
	v_fma_f32 v17, -v12, v14, 1.0
	v_fmac_f32_e32 v14, v17, v14
	v_mul_f32_e32 v17, v16, v14
	v_fma_f32 v19, -v12, v17, v16
	v_fmac_f32_e32 v17, v19, v14
	v_fma_f32 v12, -v12, v17, v16
	v_div_fmas_f32 v12, v12, v14, v17
	v_div_fixup_f32 v10, v12, v18, v10
	v_add_f32_e32 v10, s12, v10
	v_mul_f32_e32 v12, 0x4b800000, v10
	v_cmp_gt_f32_e32 vcc, s2, v10
	v_cndmask_b32_e32 v10, v10, v12, vcc
	v_rsq_f32_e32 v10, v10
	v_mul_f32_e32 v12, 0x45800000, v10
	v_cndmask_b32_e32 v10, v10, v12, vcc
	v_mov_b32_e32 v12, 0
	ds_write_b32 v12, v10 offset:128
.LBB9_12:
	s_or_b64 exec, exec, s[0:1]
	v_mov_b32_e32 v10, s9
	s_waitcnt lgkmcnt(0)
	v_add_co_u32_e32 v12, vcc, s8, v1
	v_addc_co_u32_e32 v10, vcc, 0, v10, vcc
	v_mov_b32_e32 v14, s11
	v_add_co_u32_e32 v18, vcc, s10, v1
	v_addc_co_u32_e32 v14, vcc, 0, v14, vcc
	v_add_co_u32_e32 v16, vcc, s14, v12
	v_addc_co_u32_e32 v17, vcc, 0, v10, vcc
	;; [unrolled: 2-line block ×3, first 2 shown]
	s_barrier
	global_load_dword v20, v1, s[8:9]
	global_load_dword v21, v1, s[10:11]
	global_load_dword v10, v[18:19], off
	s_nop 0
	global_load_dword v1, v[16:17], off
	v_add_co_u32_e32 v16, vcc, s14, v16
	v_addc_co_u32_e32 v17, vcc, 0, v17, vcc
	v_add_co_u32_e32 v18, vcc, s14, v18
	v_addc_co_u32_e32 v19, vcc, 0, v19, vcc
	global_load_dword v12, v[16:17], off
	v_add_co_u32_e32 v16, vcc, s14, v16
	v_addc_co_u32_e32 v17, vcc, 0, v17, vcc
	global_load_dword v22, v[16:17], off
	v_add_co_u32_e32 v16, vcc, s14, v18
	global_load_dword v14, v[18:19], off
	v_addc_co_u32_e32 v17, vcc, 0, v19, vcc
	global_load_dword v16, v[16:17], off
	v_mov_b32_e32 v17, 0
	ds_read_b32 v17, v17 offset:128
	s_waitcnt lgkmcnt(0)
	v_cvt_f16_f32_e32 v17, v17
	v_pk_mul_f16 v0, v17, v0 op_sel_hi:[0,1]
	v_pk_mul_f16 v11, v17, v11 op_sel_hi:[0,1]
	;; [unrolled: 1-line block ×4, first 2 shown]
	s_waitcnt vmcnt(6)
	v_pk_fma_f16 v0, v0, v20, v21
	global_store_dword v[2:3], v0, off
	s_waitcnt vmcnt(5)
	v_pk_fma_f16 v0, v11, v1, v10
	global_store_dword v[4:5], v0, off
	;; [unrolled: 3-line block ×4, first 2 shown]
	s_endpgm
	.section	.rodata,"a",@progbits
	.p2align	6, 0x0
	.amdhsa_kernel _Z30addBiasResidualPostLayerNormV2I6__halfLi32EEvPT_PKS1_S4_S4_S4_fi
		.amdhsa_group_segment_fixed_size 136
		.amdhsa_private_segment_fixed_size 0
		.amdhsa_kernarg_size 304
		.amdhsa_user_sgpr_count 6
		.amdhsa_user_sgpr_private_segment_buffer 1
		.amdhsa_user_sgpr_dispatch_ptr 0
		.amdhsa_user_sgpr_queue_ptr 0
		.amdhsa_user_sgpr_kernarg_segment_ptr 1
		.amdhsa_user_sgpr_dispatch_id 0
		.amdhsa_user_sgpr_flat_scratch_init 0
		.amdhsa_user_sgpr_kernarg_preload_length 0
		.amdhsa_user_sgpr_kernarg_preload_offset 0
		.amdhsa_user_sgpr_private_segment_size 0
		.amdhsa_uses_dynamic_stack 0
		.amdhsa_system_sgpr_private_segment_wavefront_offset 0
		.amdhsa_system_sgpr_workgroup_id_x 1
		.amdhsa_system_sgpr_workgroup_id_y 0
		.amdhsa_system_sgpr_workgroup_id_z 0
		.amdhsa_system_sgpr_workgroup_info 0
		.amdhsa_system_vgpr_workitem_id 0
		.amdhsa_next_free_vgpr 27
		.amdhsa_next_free_sgpr 15
		.amdhsa_accum_offset 28
		.amdhsa_reserve_vcc 1
		.amdhsa_reserve_flat_scratch 0
		.amdhsa_float_round_mode_32 0
		.amdhsa_float_round_mode_16_64 0
		.amdhsa_float_denorm_mode_32 3
		.amdhsa_float_denorm_mode_16_64 3
		.amdhsa_dx10_clamp 1
		.amdhsa_ieee_mode 1
		.amdhsa_fp16_overflow 0
		.amdhsa_tg_split 0
		.amdhsa_exception_fp_ieee_invalid_op 0
		.amdhsa_exception_fp_denorm_src 0
		.amdhsa_exception_fp_ieee_div_zero 0
		.amdhsa_exception_fp_ieee_overflow 0
		.amdhsa_exception_fp_ieee_underflow 0
		.amdhsa_exception_fp_ieee_inexact 0
		.amdhsa_exception_int_div_zero 0
	.end_amdhsa_kernel
	.section	.text._Z30addBiasResidualPostLayerNormV2I6__halfLi32EEvPT_PKS1_S4_S4_S4_fi,"axG",@progbits,_Z30addBiasResidualPostLayerNormV2I6__halfLi32EEvPT_PKS1_S4_S4_S4_fi,comdat
.Lfunc_end9:
	.size	_Z30addBiasResidualPostLayerNormV2I6__halfLi32EEvPT_PKS1_S4_S4_S4_fi, .Lfunc_end9-_Z30addBiasResidualPostLayerNormV2I6__halfLi32EEvPT_PKS1_S4_S4_S4_fi
                                        ; -- End function
	.section	.AMDGPU.csdata,"",@progbits
; Kernel info:
; codeLenInByte = 1724
; NumSgprs: 19
; NumVgprs: 27
; NumAgprs: 0
; TotalNumVgprs: 27
; ScratchSize: 0
; MemoryBound: 0
; FloatMode: 240
; IeeeMode: 1
; LDSByteSize: 136 bytes/workgroup (compile time only)
; SGPRBlocks: 2
; VGPRBlocks: 3
; NumSGPRsForWavesPerEU: 19
; NumVGPRsForWavesPerEU: 27
; AccumOffset: 28
; Occupancy: 8
; WaveLimiterHint : 0
; COMPUTE_PGM_RSRC2:SCRATCH_EN: 0
; COMPUTE_PGM_RSRC2:USER_SGPR: 6
; COMPUTE_PGM_RSRC2:TRAP_HANDLER: 0
; COMPUTE_PGM_RSRC2:TGID_X_EN: 1
; COMPUTE_PGM_RSRC2:TGID_Y_EN: 0
; COMPUTE_PGM_RSRC2:TGID_Z_EN: 0
; COMPUTE_PGM_RSRC2:TIDIG_COMP_CNT: 0
; COMPUTE_PGM_RSRC3_GFX90A:ACCUM_OFFSET: 6
; COMPUTE_PGM_RSRC3_GFX90A:TG_SPLIT: 0
	.section	.text._Z28addBiasResidualPostLayerNormI6__halfLi1ELi64EEvPT_PKS1_S4_S4_S4_fi,"axG",@progbits,_Z28addBiasResidualPostLayerNormI6__halfLi1ELi64EEvPT_PKS1_S4_S4_S4_fi,comdat
	.protected	_Z28addBiasResidualPostLayerNormI6__halfLi1ELi64EEvPT_PKS1_S4_S4_S4_fi ; -- Begin function _Z28addBiasResidualPostLayerNormI6__halfLi1ELi64EEvPT_PKS1_S4_S4_S4_fi
	.globl	_Z28addBiasResidualPostLayerNormI6__halfLi1ELi64EEvPT_PKS1_S4_S4_S4_fi
	.p2align	8
	.type	_Z28addBiasResidualPostLayerNormI6__halfLi1ELi64EEvPT_PKS1_S4_S4_S4_fi,@function
_Z28addBiasResidualPostLayerNormI6__halfLi1ELi64EEvPT_PKS1_S4_S4_S4_fi: ; @_Z28addBiasResidualPostLayerNormI6__halfLi1ELi64EEvPT_PKS1_S4_S4_S4_fi
; %bb.0:
	s_load_dwordx2 s[12:13], s[4:5], 0x28
	s_load_dwordx2 s[10:11], s[4:5], 0x0
	v_mov_b32_e32 v5, 0
	v_lshlrev_b32_e32 v1, 1, v0
                                        ; implicit-def: $vgpr4
	s_waitcnt lgkmcnt(0)
	s_mul_i32 s6, s6, s13
	v_cmp_gt_i32_e64 s[0:1], s13, v0
	v_add_u32_e32 v2, s6, v0
	s_and_saveexec_b64 s[2:3], s[0:1]
	s_cbranch_execz .LBB10_2
; %bb.1:
	s_load_dwordx4 s[16:19], s[4:5], 0x8
	v_mov_b32_e32 v3, 0
	v_lshlrev_b64 v[4:5], 1, v[2:3]
	v_mov_b32_e32 v3, s11
	v_add_co_u32_e32 v6, vcc, s10, v4
	v_addc_co_u32_e32 v7, vcc, v3, v5, vcc
	global_load_ushort v3, v[6:7], off
	s_waitcnt lgkmcnt(0)
	v_mov_b32_e32 v6, s17
	v_add_co_u32_e32 v4, vcc, s16, v4
	v_addc_co_u32_e32 v5, vcc, v6, v5, vcc
	global_load_ushort v6, v[4:5], off
	global_load_ushort v7, v1, s[18:19]
	s_waitcnt vmcnt(1)
	v_add_f16_e32 v3, v3, v6
	s_waitcnt vmcnt(0)
	v_add_f16_e32 v3, v3, v7
	v_cvt_f32_f16_e32 v4, v3
	v_add_f32_e32 v5, 0, v4
.LBB10_2:
	s_or_b64 exec, exec, s[2:3]
	v_mbcnt_lo_u32_b32 v3, -1, 0
	v_mbcnt_hi_u32_b32 v9, -1, v3
	v_and_b32_e32 v3, 64, v9
	v_add_u32_e32 v10, 64, v3
	v_xor_b32_e32 v3, 32, v9
	v_cmp_lt_i32_e32 vcc, v3, v10
	v_cndmask_b32_e32 v3, v9, v3, vcc
	v_lshlrev_b32_e32 v3, 2, v3
	ds_bpermute_b32 v6, v3, v5
	v_xor_b32_e32 v7, 16, v9
	v_cmp_lt_i32_e32 vcc, v7, v10
	v_xor_b32_e32 v8, 8, v9
	v_xor_b32_e32 v11, 4, v9
	s_waitcnt lgkmcnt(0)
	v_add_f32_e32 v6, v5, v6
	v_cndmask_b32_e32 v5, v9, v7, vcc
	v_lshlrev_b32_e32 v5, 2, v5
	ds_bpermute_b32 v7, v5, v6
	v_cmp_lt_i32_e32 vcc, v8, v10
	v_xor_b32_e32 v12, 2, v9
	v_xor_b32_e32 v13, 1, v9
	s_waitcnt lgkmcnt(0)
	v_add_f32_e32 v7, v6, v7
	v_cndmask_b32_e32 v6, v9, v8, vcc
	v_lshlrev_b32_e32 v6, 2, v6
	ds_bpermute_b32 v8, v6, v7
	v_cmp_lt_i32_e32 vcc, v11, v10
	s_waitcnt lgkmcnt(0)
	v_add_f32_e32 v8, v7, v8
	v_cndmask_b32_e32 v7, v9, v11, vcc
	v_lshlrev_b32_e32 v7, 2, v7
	ds_bpermute_b32 v11, v7, v8
	v_cmp_lt_i32_e32 vcc, v12, v10
	;; [unrolled: 6-line block ×3, first 2 shown]
	v_cndmask_b32_e32 v9, v9, v13, vcc
	v_lshlrev_b32_e32 v9, 2, v9
	v_and_b32_e32 v10, 63, v0
	s_waitcnt lgkmcnt(0)
	v_add_f32_e32 v12, v11, v12
	ds_bpermute_b32 v13, v9, v12
	v_cmp_eq_u32_e64 s[2:3], 0, v10
	v_lshrrev_b32_e32 v11, 4, v0
	s_and_saveexec_b64 s[6:7], s[2:3]
	s_cbranch_execz .LBB10_4
; %bb.3:
	s_waitcnt lgkmcnt(0)
	v_add_f32_e32 v12, v12, v13
	ds_write_b32 v11, v12
.LBB10_4:
	s_or_b64 exec, exec, s[6:7]
	s_waitcnt lgkmcnt(0)
	s_barrier
	s_load_dword s6, s[4:5], 0x3c
	v_mov_b32_e32 v13, 0
	v_lshlrev_b32_e32 v12, 2, v10
	s_waitcnt lgkmcnt(0)
	s_bfe_u32 s6, s6, 0xa0006
	v_cmp_gt_u32_e64 s[6:7], s6, v0
	s_and_saveexec_b64 s[8:9], s[6:7]
	s_cbranch_execz .LBB10_6
; %bb.5:
	ds_read_b32 v13, v12
.LBB10_6:
	s_or_b64 exec, exec, s[8:9]
	s_waitcnt lgkmcnt(0)
	ds_bpermute_b32 v10, v3, v13
	v_cmp_eq_u32_e64 s[8:9], 0, v0
	s_waitcnt lgkmcnt(0)
	v_add_f32_e32 v10, v13, v10
	ds_bpermute_b32 v13, v5, v10
	s_waitcnt lgkmcnt(0)
	v_add_f32_e32 v10, v10, v13
	ds_bpermute_b32 v13, v6, v10
	;; [unrolled: 3-line block ×5, first 2 shown]
	v_cvt_f32_i32_e32 v10, s13
	s_and_saveexec_b64 s[14:15], s[8:9]
	s_cbranch_execz .LBB10_8
; %bb.7:
	s_waitcnt lgkmcnt(0)
	v_add_f32_e32 v0, v13, v14
	v_div_scale_f32 v13, s[16:17], v10, v10, v0
	v_rcp_f32_e32 v14, v13
	v_div_scale_f32 v15, vcc, v0, v10, v0
	v_fma_f32 v16, -v13, v14, 1.0
	v_fmac_f32_e32 v14, v16, v14
	v_mul_f32_e32 v16, v15, v14
	v_fma_f32 v17, -v13, v16, v15
	v_fmac_f32_e32 v16, v17, v14
	v_fma_f32 v13, -v13, v16, v15
	v_div_fmas_f32 v13, v13, v14, v16
	v_div_fixup_f32 v0, v13, v10, v0
	v_mov_b32_e32 v13, 0
	ds_write_b32 v13, v0 offset:68
.LBB10_8:
	s_or_b64 exec, exec, s[14:15]
	v_mov_b32_e32 v0, 0
	s_waitcnt lgkmcnt(0)
	s_barrier
	ds_read_b32 v13, v0 offset:68
	s_waitcnt lgkmcnt(0)
	v_sub_f32_e32 v13, v4, v13
	v_mul_f32_e32 v13, v13, v13
	v_cndmask_b32_e64 v13, 0, v13, s[0:1]
	ds_bpermute_b32 v14, v3, v13
	s_waitcnt lgkmcnt(0)
	v_add_f32_e32 v13, v13, v14
	ds_bpermute_b32 v14, v5, v13
	s_waitcnt lgkmcnt(0)
	v_add_f32_e32 v13, v13, v14
	ds_bpermute_b32 v14, v6, v13
	s_waitcnt lgkmcnt(0)
	v_add_f32_e32 v13, v13, v14
	ds_bpermute_b32 v14, v7, v13
	s_waitcnt lgkmcnt(0)
	v_add_f32_e32 v13, v13, v14
	ds_bpermute_b32 v14, v8, v13
	s_waitcnt lgkmcnt(0)
	v_add_f32_e32 v13, v13, v14
	ds_bpermute_b32 v14, v9, v13
	s_and_saveexec_b64 s[14:15], s[2:3]
	s_cbranch_execz .LBB10_10
; %bb.9:
	s_waitcnt lgkmcnt(0)
	v_add_f32_e32 v13, v13, v14
	ds_write_b32 v11, v13
.LBB10_10:
	s_or_b64 exec, exec, s[14:15]
	s_waitcnt lgkmcnt(0)
	s_barrier
	s_and_saveexec_b64 s[2:3], s[6:7]
	s_cbranch_execz .LBB10_12
; %bb.11:
	ds_read_b32 v0, v12
.LBB10_12:
	s_or_b64 exec, exec, s[2:3]
	s_waitcnt lgkmcnt(0)
	ds_bpermute_b32 v3, v3, v0
	s_waitcnt lgkmcnt(0)
	v_add_f32_e32 v0, v0, v3
	ds_bpermute_b32 v3, v5, v0
	s_waitcnt lgkmcnt(0)
	v_add_f32_e32 v0, v0, v3
	;; [unrolled: 3-line block ×5, first 2 shown]
	ds_bpermute_b32 v3, v9, v0
	s_and_saveexec_b64 s[2:3], s[8:9]
	s_cbranch_execz .LBB10_14
; %bb.13:
	s_waitcnt lgkmcnt(0)
	v_add_f32_e32 v0, v0, v3
	v_div_scale_f32 v3, s[6:7], v10, v10, v0
	v_rcp_f32_e32 v5, v3
	v_div_scale_f32 v6, vcc, v0, v10, v0
	v_fma_f32 v7, -v3, v5, 1.0
	v_fmac_f32_e32 v5, v7, v5
	v_mul_f32_e32 v7, v6, v5
	v_fma_f32 v8, -v3, v7, v6
	v_fmac_f32_e32 v7, v8, v5
	v_fma_f32 v3, -v3, v7, v6
	v_div_fmas_f32 v3, v3, v5, v7
	v_div_fixup_f32 v0, v3, v10, v0
	v_add_f32_e32 v0, s12, v0
	v_mov_b32_e32 v3, 0
	ds_write_b32 v3, v0 offset:64
.LBB10_14:
	s_or_b64 exec, exec, s[2:3]
	s_waitcnt lgkmcnt(0)
	s_barrier
	s_and_saveexec_b64 s[2:3], s[0:1]
	s_cbranch_execz .LBB10_16
; %bb.15:
	s_load_dwordx4 s[0:3], s[4:5], 0x18
	v_mov_b32_e32 v3, 0
	s_waitcnt lgkmcnt(0)
	global_load_ushort v5, v1, s[0:1]
	global_load_ushort v6, v1, s[2:3]
	ds_read_b64 v[0:1], v3 offset:64
	s_mov_b32 s0, 0x800000
	v_lshlrev_b64 v[2:3], 1, v[2:3]
	s_waitcnt lgkmcnt(0)
	v_mul_f32_e32 v7, 0x4b800000, v0
	v_cmp_gt_f32_e32 vcc, s0, v0
	v_cndmask_b32_e32 v0, v0, v7, vcc
	v_rsq_f32_e32 v0, v0
	v_sub_f32_e32 v1, v4, v1
	v_mov_b32_e32 v7, s11
	v_mul_f32_e32 v4, 0x45800000, v0
	v_cndmask_b32_e32 v0, v0, v4, vcc
	v_mul_f32_e32 v0, v1, v0
	s_waitcnt vmcnt(0)
	v_fma_mixlo_f16 v4, v0, v5, v6 op_sel_hi:[0,1,1]
	v_add_co_u32_e32 v0, vcc, s10, v2
	v_addc_co_u32_e32 v1, vcc, v7, v3, vcc
	global_store_short v[0:1], v4, off
.LBB10_16:
	s_endpgm
	.section	.rodata,"a",@progbits
	.p2align	6, 0x0
	.amdhsa_kernel _Z28addBiasResidualPostLayerNormI6__halfLi1ELi64EEvPT_PKS1_S4_S4_S4_fi
		.amdhsa_group_segment_fixed_size 72
		.amdhsa_private_segment_fixed_size 0
		.amdhsa_kernarg_size 304
		.amdhsa_user_sgpr_count 6
		.amdhsa_user_sgpr_private_segment_buffer 1
		.amdhsa_user_sgpr_dispatch_ptr 0
		.amdhsa_user_sgpr_queue_ptr 0
		.amdhsa_user_sgpr_kernarg_segment_ptr 1
		.amdhsa_user_sgpr_dispatch_id 0
		.amdhsa_user_sgpr_flat_scratch_init 0
		.amdhsa_user_sgpr_kernarg_preload_length 0
		.amdhsa_user_sgpr_kernarg_preload_offset 0
		.amdhsa_user_sgpr_private_segment_size 0
		.amdhsa_uses_dynamic_stack 0
		.amdhsa_system_sgpr_private_segment_wavefront_offset 0
		.amdhsa_system_sgpr_workgroup_id_x 1
		.amdhsa_system_sgpr_workgroup_id_y 0
		.amdhsa_system_sgpr_workgroup_id_z 0
		.amdhsa_system_sgpr_workgroup_info 0
		.amdhsa_system_vgpr_workitem_id 0
		.amdhsa_next_free_vgpr 18
		.amdhsa_next_free_sgpr 20
		.amdhsa_accum_offset 20
		.amdhsa_reserve_vcc 1
		.amdhsa_reserve_flat_scratch 0
		.amdhsa_float_round_mode_32 0
		.amdhsa_float_round_mode_16_64 0
		.amdhsa_float_denorm_mode_32 3
		.amdhsa_float_denorm_mode_16_64 3
		.amdhsa_dx10_clamp 1
		.amdhsa_ieee_mode 1
		.amdhsa_fp16_overflow 0
		.amdhsa_tg_split 0
		.amdhsa_exception_fp_ieee_invalid_op 0
		.amdhsa_exception_fp_denorm_src 0
		.amdhsa_exception_fp_ieee_div_zero 0
		.amdhsa_exception_fp_ieee_overflow 0
		.amdhsa_exception_fp_ieee_underflow 0
		.amdhsa_exception_fp_ieee_inexact 0
		.amdhsa_exception_int_div_zero 0
	.end_amdhsa_kernel
	.section	.text._Z28addBiasResidualPostLayerNormI6__halfLi1ELi64EEvPT_PKS1_S4_S4_S4_fi,"axG",@progbits,_Z28addBiasResidualPostLayerNormI6__halfLi1ELi64EEvPT_PKS1_S4_S4_S4_fi,comdat
.Lfunc_end10:
	.size	_Z28addBiasResidualPostLayerNormI6__halfLi1ELi64EEvPT_PKS1_S4_S4_S4_fi, .Lfunc_end10-_Z28addBiasResidualPostLayerNormI6__halfLi1ELi64EEvPT_PKS1_S4_S4_S4_fi
                                        ; -- End function
	.section	.AMDGPU.csdata,"",@progbits
; Kernel info:
; codeLenInByte = 1212
; NumSgprs: 24
; NumVgprs: 18
; NumAgprs: 0
; TotalNumVgprs: 18
; ScratchSize: 0
; MemoryBound: 0
; FloatMode: 240
; IeeeMode: 1
; LDSByteSize: 72 bytes/workgroup (compile time only)
; SGPRBlocks: 2
; VGPRBlocks: 2
; NumSGPRsForWavesPerEU: 24
; NumVGPRsForWavesPerEU: 18
; AccumOffset: 20
; Occupancy: 8
; WaveLimiterHint : 0
; COMPUTE_PGM_RSRC2:SCRATCH_EN: 0
; COMPUTE_PGM_RSRC2:USER_SGPR: 6
; COMPUTE_PGM_RSRC2:TRAP_HANDLER: 0
; COMPUTE_PGM_RSRC2:TGID_X_EN: 1
; COMPUTE_PGM_RSRC2:TGID_Y_EN: 0
; COMPUTE_PGM_RSRC2:TGID_Z_EN: 0
; COMPUTE_PGM_RSRC2:TIDIG_COMP_CNT: 0
; COMPUTE_PGM_RSRC3_GFX90A:ACCUM_OFFSET: 4
; COMPUTE_PGM_RSRC3_GFX90A:TG_SPLIT: 0
	.section	.text._Z28addBiasResidualPostLayerNormI6__halfLi2ELi64EEvPT_PKS1_S4_S4_S4_fi,"axG",@progbits,_Z28addBiasResidualPostLayerNormI6__halfLi2ELi64EEvPT_PKS1_S4_S4_S4_fi,comdat
	.protected	_Z28addBiasResidualPostLayerNormI6__halfLi2ELi64EEvPT_PKS1_S4_S4_S4_fi ; -- Begin function _Z28addBiasResidualPostLayerNormI6__halfLi2ELi64EEvPT_PKS1_S4_S4_S4_fi
	.globl	_Z28addBiasResidualPostLayerNormI6__halfLi2ELi64EEvPT_PKS1_S4_S4_S4_fi
	.p2align	8
	.type	_Z28addBiasResidualPostLayerNormI6__halfLi2ELi64EEvPT_PKS1_S4_S4_S4_fi,@function
_Z28addBiasResidualPostLayerNormI6__halfLi2ELi64EEvPT_PKS1_S4_S4_S4_fi: ; @_Z28addBiasResidualPostLayerNormI6__halfLi2ELi64EEvPT_PKS1_S4_S4_S4_fi
; %bb.0:
	s_load_dwordx2 s[14:15], s[4:5], 0x28
	s_load_dwordx2 s[12:13], s[4:5], 0x0
	v_mov_b32_e32 v7, 0
	v_lshlrev_b32_e32 v6, 1, v0
                                        ; implicit-def: $vgpr4
	s_waitcnt lgkmcnt(0)
	s_mul_i32 s16, s6, s15
	v_cmp_gt_i32_e64 s[0:1], s15, v0
	v_add_u32_e32 v2, s16, v0
	s_and_saveexec_b64 s[2:3], s[0:1]
	s_cbranch_execz .LBB11_4
; %bb.1:
	s_load_dwordx4 s[8:11], s[4:5], 0x8
	s_load_dword s6, s[4:5], 0x3c
	v_mov_b32_e32 v3, 0
	v_lshlrev_b64 v[4:5], 1, v[2:3]
	v_mov_b32_e32 v1, s13
	v_add_co_u32_e32 v8, vcc, s12, v4
	v_addc_co_u32_e32 v9, vcc, v1, v5, vcc
	s_waitcnt lgkmcnt(0)
	v_mov_b32_e32 v7, s9
	v_add_co_u32_e32 v4, vcc, s8, v4
	global_load_ushort v1, v[8:9], off
	v_addc_co_u32_e32 v5, vcc, v7, v5, vcc
	global_load_ushort v7, v[4:5], off
	global_load_ushort v8, v6, s[10:11]
	s_and_b32 s17, s6, 0xffff
	s_waitcnt vmcnt(1)
	v_add_f16_e32 v1, v1, v7
	s_waitcnt vmcnt(0)
	v_add_f16_e32 v1, v1, v8
	v_cvt_f32_f16_e32 v4, v1
	v_add_u32_e32 v1, s17, v0
	v_cmp_gt_u32_e32 vcc, s15, v1
	v_add_f32_e32 v7, 0, v4
	s_and_saveexec_b64 s[6:7], vcc
	s_cbranch_execz .LBB11_3
; %bb.2:
	v_mov_b32_e32 v5, s11
	v_add_co_u32_e32 v12, vcc, s10, v6
	v_add_u32_e32 v8, s16, v1
	v_mov_b32_e32 v9, v3
	v_addc_co_u32_e32 v5, vcc, 0, v5, vcc
	v_lshlrev_b64 v[8:9], 1, v[8:9]
	v_mov_b32_e32 v1, s13
	v_add_co_u32_e32 v10, vcc, s12, v8
	v_addc_co_u32_e32 v11, vcc, v1, v9, vcc
	v_mov_b32_e32 v3, s9
	v_add_co_u32_e32 v8, vcc, s8, v8
	v_addc_co_u32_e32 v9, vcc, v3, v9, vcc
	s_lshl_b32 s8, s17, 1
	global_load_ushort v3, v[8:9], off
	v_add_co_u32_e32 v8, vcc, s8, v12
	global_load_ushort v1, v[10:11], off
	v_addc_co_u32_e32 v9, vcc, 0, v5, vcc
	global_load_ushort v5, v[8:9], off
	s_waitcnt vmcnt(1)
	v_add_f16_e32 v1, v1, v3
	s_waitcnt vmcnt(0)
	v_add_f16_e32 v1, v1, v5
	v_cvt_f32_f16_e32 v5, v1
	v_add_f32_e32 v7, v7, v5
.LBB11_3:
	s_or_b64 exec, exec, s[6:7]
.LBB11_4:
	s_or_b64 exec, exec, s[2:3]
	v_mbcnt_lo_u32_b32 v1, -1, 0
	v_mbcnt_hi_u32_b32 v11, -1, v1
	v_and_b32_e32 v1, 64, v11
	v_add_u32_e32 v13, 64, v1
	v_xor_b32_e32 v1, 32, v11
	v_cmp_lt_i32_e32 vcc, v1, v13
	v_cndmask_b32_e32 v1, v11, v1, vcc
	v_lshlrev_b32_e32 v1, 2, v1
	ds_bpermute_b32 v3, v1, v7
	v_xor_b32_e32 v8, 16, v11
	v_cmp_lt_i32_e32 vcc, v8, v13
	v_xor_b32_e32 v9, 8, v11
	v_xor_b32_e32 v10, 4, v11
	s_waitcnt lgkmcnt(0)
	v_add_f32_e32 v7, v7, v3
	v_cndmask_b32_e32 v3, v11, v8, vcc
	v_lshlrev_b32_e32 v3, 2, v3
	ds_bpermute_b32 v8, v3, v7
	v_cmp_lt_i32_e32 vcc, v9, v13
	v_xor_b32_e32 v12, 2, v11
	v_xor_b32_e32 v14, 1, v11
	s_waitcnt lgkmcnt(0)
	v_add_f32_e32 v7, v7, v8
	v_cndmask_b32_e32 v8, v11, v9, vcc
	v_lshlrev_b32_e32 v8, 2, v8
	ds_bpermute_b32 v9, v8, v7
	v_cmp_lt_i32_e32 vcc, v10, v13
	s_waitcnt lgkmcnt(0)
	v_add_f32_e32 v7, v7, v9
	v_cndmask_b32_e32 v9, v11, v10, vcc
	v_lshlrev_b32_e32 v9, 2, v9
	ds_bpermute_b32 v10, v9, v7
	v_cmp_lt_i32_e32 vcc, v12, v13
	;; [unrolled: 6-line block ×3, first 2 shown]
	v_lshrrev_b32_e32 v13, 4, v0
	s_waitcnt lgkmcnt(0)
	v_add_f32_e32 v12, v7, v12
	v_cndmask_b32_e32 v7, v11, v14, vcc
	v_lshlrev_b32_e32 v11, 2, v7
	ds_bpermute_b32 v14, v11, v12
	v_and_b32_e32 v7, 63, v0
	v_cmp_eq_u32_e64 s[2:3], 0, v7
	s_and_saveexec_b64 s[6:7], s[2:3]
	s_cbranch_execz .LBB11_6
; %bb.5:
	s_waitcnt lgkmcnt(0)
	v_add_f32_e32 v12, v12, v14
	ds_write_b32 v13, v12
.LBB11_6:
	s_or_b64 exec, exec, s[6:7]
	s_waitcnt lgkmcnt(0)
	s_barrier
	s_load_dword s10, s[4:5], 0x3c
	v_mov_b32_e32 v12, 0
	v_lshlrev_b32_e32 v14, 2, v7
	s_waitcnt lgkmcnt(0)
	s_bfe_u32 s6, s10, 0xa0006
	v_cmp_gt_u32_e64 s[6:7], s6, v0
	s_and_saveexec_b64 s[8:9], s[6:7]
	s_cbranch_execz .LBB11_8
; %bb.7:
	ds_read_b32 v12, v14
.LBB11_8:
	s_or_b64 exec, exec, s[8:9]
	s_waitcnt lgkmcnt(0)
	ds_bpermute_b32 v7, v1, v12
	s_and_b32 s17, s10, 0xffff
	v_cmp_eq_u32_e64 s[8:9], 0, v0
	s_waitcnt lgkmcnt(0)
	v_add_f32_e32 v7, v12, v7
	ds_bpermute_b32 v12, v3, v7
	s_waitcnt lgkmcnt(0)
	v_add_f32_e32 v7, v7, v12
	ds_bpermute_b32 v12, v8, v7
	;; [unrolled: 3-line block ×5, first 2 shown]
	v_cvt_f32_i32_e32 v12, s15
	s_and_saveexec_b64 s[10:11], s[8:9]
	s_cbranch_execz .LBB11_10
; %bb.9:
	s_waitcnt lgkmcnt(0)
	v_add_f32_e32 v7, v7, v15
	v_div_scale_f32 v15, s[18:19], v12, v12, v7
	v_rcp_f32_e32 v16, v15
	v_div_scale_f32 v17, vcc, v7, v12, v7
	v_fma_f32 v18, -v15, v16, 1.0
	v_fmac_f32_e32 v16, v18, v16
	v_mul_f32_e32 v18, v17, v16
	v_fma_f32 v19, -v15, v18, v17
	v_fmac_f32_e32 v18, v19, v16
	v_fma_f32 v15, -v15, v18, v17
	v_div_fmas_f32 v15, v15, v16, v18
	v_div_fixup_f32 v7, v15, v12, v7
	v_mov_b32_e32 v15, 0
	ds_write_b32 v15, v7 offset:68
.LBB11_10:
	s_or_b64 exec, exec, s[10:11]
	s_waitcnt lgkmcnt(0)
	v_mov_b32_e32 v15, 0
	v_add_u32_e32 v7, s17, v0
	s_barrier
	s_and_saveexec_b64 s[10:11], s[0:1]
	s_cbranch_execz .LBB11_12
; %bb.11:
	v_mov_b32_e32 v0, 0
	ds_read_b32 v0, v0 offset:68
	v_cmp_gt_u32_e32 vcc, s15, v7
	s_waitcnt lgkmcnt(0)
	v_pk_add_f32 v[16:17], v[4:5], v[0:1] op_sel_hi:[1,0] neg_lo:[0,1] neg_hi:[0,1]
	v_pk_mul_f32 v[16:17], v[16:17], v[16:17]
	v_add_f32_e32 v0, v16, v17
	v_cndmask_b32_e32 v15, v16, v0, vcc
.LBB11_12:
	s_or_b64 exec, exec, s[10:11]
	ds_bpermute_b32 v0, v1, v15
	s_waitcnt lgkmcnt(0)
	v_add_f32_e32 v0, v15, v0
	ds_bpermute_b32 v15, v3, v0
	s_waitcnt lgkmcnt(0)
	v_add_f32_e32 v0, v0, v15
	;; [unrolled: 3-line block ×5, first 2 shown]
	ds_bpermute_b32 v15, v11, v0
	s_and_saveexec_b64 s[10:11], s[2:3]
	s_cbranch_execz .LBB11_14
; %bb.13:
	s_waitcnt lgkmcnt(0)
	v_add_f32_e32 v0, v0, v15
	ds_write_b32 v13, v0
.LBB11_14:
	s_or_b64 exec, exec, s[10:11]
	v_mov_b32_e32 v0, 0
	s_waitcnt lgkmcnt(0)
	s_barrier
	s_and_saveexec_b64 s[2:3], s[6:7]
	s_cbranch_execz .LBB11_16
; %bb.15:
	ds_read_b32 v0, v14
.LBB11_16:
	s_or_b64 exec, exec, s[2:3]
	s_waitcnt lgkmcnt(0)
	ds_bpermute_b32 v1, v1, v0
	s_waitcnt lgkmcnt(0)
	v_add_f32_e32 v0, v0, v1
	ds_bpermute_b32 v1, v3, v0
	s_waitcnt lgkmcnt(0)
	v_add_f32_e32 v0, v0, v1
	;; [unrolled: 3-line block ×5, first 2 shown]
	ds_bpermute_b32 v1, v11, v0
	s_and_saveexec_b64 s[2:3], s[8:9]
	s_cbranch_execz .LBB11_18
; %bb.17:
	s_waitcnt lgkmcnt(0)
	v_add_f32_e32 v0, v0, v1
	v_div_scale_f32 v1, s[6:7], v12, v12, v0
	v_rcp_f32_e32 v3, v1
	v_div_scale_f32 v8, vcc, v0, v12, v0
	v_fma_f32 v9, -v1, v3, 1.0
	v_fmac_f32_e32 v3, v9, v3
	v_mul_f32_e32 v9, v8, v3
	v_fma_f32 v10, -v1, v9, v8
	v_fmac_f32_e32 v9, v10, v3
	v_fma_f32 v1, -v1, v9, v8
	v_div_fmas_f32 v1, v1, v3, v9
	v_div_fixup_f32 v0, v1, v12, v0
	v_add_f32_e32 v0, s14, v0
	v_mov_b32_e32 v1, 0
	ds_write_b32 v1, v0 offset:64
.LBB11_18:
	s_or_b64 exec, exec, s[2:3]
	s_waitcnt lgkmcnt(0)
	s_barrier
	s_and_saveexec_b64 s[2:3], s[0:1]
	s_cbranch_execz .LBB11_21
; %bb.19:
	s_load_dwordx4 s[4:7], s[4:5], 0x18
	v_mov_b32_e32 v3, 0
	s_mov_b32 s0, 0x800000
	v_lshlrev_b64 v[8:9], 1, v[2:3]
	v_mov_b32_e32 v12, s13
	s_waitcnt lgkmcnt(0)
	global_load_ushort v10, v6, s[4:5]
	global_load_ushort v11, v6, s[6:7]
	ds_read_b64 v[0:1], v3 offset:64
	s_waitcnt lgkmcnt(0)
	v_mul_f32_e32 v2, 0x4b800000, v0
	v_cmp_gt_f32_e32 vcc, s0, v0
	v_cndmask_b32_e32 v0, v0, v2, vcc
	v_rsq_f32_e32 v0, v0
	v_sub_f32_e32 v2, v4, v1
	v_add_co_u32_e64 v8, s[0:1], s12, v8
	v_mul_f32_e32 v4, 0x45800000, v0
	v_cndmask_b32_e32 v0, v0, v4, vcc
	v_mul_f32_e32 v2, v2, v0
	v_addc_co_u32_e64 v9, s[0:1], v12, v9, s[0:1]
	v_cmp_gt_u32_e32 vcc, s15, v7
	s_waitcnt vmcnt(0)
	v_fma_mixlo_f16 v2, v2, v10, v11 op_sel_hi:[0,1,1]
	global_store_short v[8:9], v2, off
	s_and_b64 exec, exec, vcc
	s_cbranch_execz .LBB11_21
; %bb.20:
	v_mov_b32_e32 v2, s5
	v_add_co_u32_e32 v4, vcc, s4, v6
	v_addc_co_u32_e32 v2, vcc, 0, v2, vcc
	v_mov_b32_e32 v8, s7
	v_add_co_u32_e32 v6, vcc, s6, v6
	v_addc_co_u32_e32 v10, vcc, 0, v8, vcc
	s_lshl_b32 s0, s17, 1
	v_add_co_u32_e32 v8, vcc, s0, v4
	v_addc_co_u32_e32 v9, vcc, 0, v2, vcc
	global_load_ushort v4, v[8:9], off
	v_add_co_u32_e32 v8, vcc, s0, v6
	v_addc_co_u32_e32 v9, vcc, 0, v10, vcc
	global_load_ushort v6, v[8:9], off
	v_sub_f32_e32 v1, v5, v1
	v_add_u32_e32 v2, s16, v7
	v_mul_f32_e32 v7, v1, v0
	v_lshlrev_b64 v[0:1], 1, v[2:3]
	v_mov_b32_e32 v5, s13
	v_add_co_u32_e32 v0, vcc, s12, v0
	v_addc_co_u32_e32 v1, vcc, v5, v1, vcc
	s_waitcnt vmcnt(0)
	v_fma_mixlo_f16 v2, v7, v4, v6 op_sel_hi:[0,1,1]
	global_store_short v[0:1], v2, off
.LBB11_21:
	s_endpgm
	.section	.rodata,"a",@progbits
	.p2align	6, 0x0
	.amdhsa_kernel _Z28addBiasResidualPostLayerNormI6__halfLi2ELi64EEvPT_PKS1_S4_S4_S4_fi
		.amdhsa_group_segment_fixed_size 72
		.amdhsa_private_segment_fixed_size 0
		.amdhsa_kernarg_size 304
		.amdhsa_user_sgpr_count 6
		.amdhsa_user_sgpr_private_segment_buffer 1
		.amdhsa_user_sgpr_dispatch_ptr 0
		.amdhsa_user_sgpr_queue_ptr 0
		.amdhsa_user_sgpr_kernarg_segment_ptr 1
		.amdhsa_user_sgpr_dispatch_id 0
		.amdhsa_user_sgpr_flat_scratch_init 0
		.amdhsa_user_sgpr_kernarg_preload_length 0
		.amdhsa_user_sgpr_kernarg_preload_offset 0
		.amdhsa_user_sgpr_private_segment_size 0
		.amdhsa_uses_dynamic_stack 0
		.amdhsa_system_sgpr_private_segment_wavefront_offset 0
		.amdhsa_system_sgpr_workgroup_id_x 1
		.amdhsa_system_sgpr_workgroup_id_y 0
		.amdhsa_system_sgpr_workgroup_id_z 0
		.amdhsa_system_sgpr_workgroup_info 0
		.amdhsa_system_vgpr_workitem_id 0
		.amdhsa_next_free_vgpr 20
		.amdhsa_next_free_sgpr 20
		.amdhsa_accum_offset 20
		.amdhsa_reserve_vcc 1
		.amdhsa_reserve_flat_scratch 0
		.amdhsa_float_round_mode_32 0
		.amdhsa_float_round_mode_16_64 0
		.amdhsa_float_denorm_mode_32 3
		.amdhsa_float_denorm_mode_16_64 3
		.amdhsa_dx10_clamp 1
		.amdhsa_ieee_mode 1
		.amdhsa_fp16_overflow 0
		.amdhsa_tg_split 0
		.amdhsa_exception_fp_ieee_invalid_op 0
		.amdhsa_exception_fp_denorm_src 0
		.amdhsa_exception_fp_ieee_div_zero 0
		.amdhsa_exception_fp_ieee_overflow 0
		.amdhsa_exception_fp_ieee_underflow 0
		.amdhsa_exception_fp_ieee_inexact 0
		.amdhsa_exception_int_div_zero 0
	.end_amdhsa_kernel
	.section	.text._Z28addBiasResidualPostLayerNormI6__halfLi2ELi64EEvPT_PKS1_S4_S4_S4_fi,"axG",@progbits,_Z28addBiasResidualPostLayerNormI6__halfLi2ELi64EEvPT_PKS1_S4_S4_S4_fi,comdat
.Lfunc_end11:
	.size	_Z28addBiasResidualPostLayerNormI6__halfLi2ELi64EEvPT_PKS1_S4_S4_S4_fi, .Lfunc_end11-_Z28addBiasResidualPostLayerNormI6__halfLi2ELi64EEvPT_PKS1_S4_S4_S4_fi
                                        ; -- End function
	.section	.AMDGPU.csdata,"",@progbits
; Kernel info:
; codeLenInByte = 1536
; NumSgprs: 24
; NumVgprs: 20
; NumAgprs: 0
; TotalNumVgprs: 20
; ScratchSize: 0
; MemoryBound: 0
; FloatMode: 240
; IeeeMode: 1
; LDSByteSize: 72 bytes/workgroup (compile time only)
; SGPRBlocks: 2
; VGPRBlocks: 2
; NumSGPRsForWavesPerEU: 24
; NumVGPRsForWavesPerEU: 20
; AccumOffset: 20
; Occupancy: 8
; WaveLimiterHint : 0
; COMPUTE_PGM_RSRC2:SCRATCH_EN: 0
; COMPUTE_PGM_RSRC2:USER_SGPR: 6
; COMPUTE_PGM_RSRC2:TRAP_HANDLER: 0
; COMPUTE_PGM_RSRC2:TGID_X_EN: 1
; COMPUTE_PGM_RSRC2:TGID_Y_EN: 0
; COMPUTE_PGM_RSRC2:TGID_Z_EN: 0
; COMPUTE_PGM_RSRC2:TIDIG_COMP_CNT: 0
; COMPUTE_PGM_RSRC3_GFX90A:ACCUM_OFFSET: 4
; COMPUTE_PGM_RSRC3_GFX90A:TG_SPLIT: 0
	.section	.text._Z35generalAddBiasResidualPostLayerNormI6__halfLi64EEvPT_PKS1_S4_S4_S4_fi,"axG",@progbits,_Z35generalAddBiasResidualPostLayerNormI6__halfLi64EEvPT_PKS1_S4_S4_S4_fi,comdat
	.protected	_Z35generalAddBiasResidualPostLayerNormI6__halfLi64EEvPT_PKS1_S4_S4_S4_fi ; -- Begin function _Z35generalAddBiasResidualPostLayerNormI6__halfLi64EEvPT_PKS1_S4_S4_S4_fi
	.globl	_Z35generalAddBiasResidualPostLayerNormI6__halfLi64EEvPT_PKS1_S4_S4_S4_fi
	.p2align	8
	.type	_Z35generalAddBiasResidualPostLayerNormI6__halfLi64EEvPT_PKS1_S4_S4_S4_fi,@function
_Z35generalAddBiasResidualPostLayerNormI6__halfLi64EEvPT_PKS1_S4_S4_S4_fi: ; @_Z35generalAddBiasResidualPostLayerNormI6__halfLi64EEvPT_PKS1_S4_S4_S4_fi
; %bb.0:
	s_load_dwordx2 s[18:19], s[4:5], 0x28
	s_load_dwordx2 s[16:17], s[4:5], 0x0
	s_load_dwordx4 s[8:11], s[4:5], 0x18
	v_mov_b32_e32 v3, 0
	v_lshlrev_b32_e32 v2, 2, v0
	s_waitcnt lgkmcnt(0)
	s_lshr_b32 s0, s19, 31
	s_add_i32 s0, s19, s0
	s_ashr_i32 s20, s0, 1
	v_cmp_gt_i32_e64 s[0:1], s20, v0
	s_mul_i32 s21, s6, s19
	s_and_saveexec_b64 s[2:3], s[0:1]
	s_cbranch_execz .LBB12_4
; %bb.1:
	s_load_dword s6, s[4:5], 0x3c
	s_load_dwordx4 s[12:15], s[4:5], 0x8
	s_mov_b32 s24, 0
	s_lshr_b32 s22, s21, 1
	v_mov_b32_e32 v3, 0
	s_waitcnt lgkmcnt(0)
	s_and_b32 s23, s6, 0xffff
	v_mov_b32_e32 v1, s15
	v_add_co_u32_e32 v4, vcc, s14, v2
	v_addc_co_u32_e32 v5, vcc, 0, v1, vcc
	s_lshl_b32 s14, s23, 2
	s_mov_b64 s[6:7], 0
	v_mov_b32_e32 v1, s17
	v_mov_b32_e32 v6, s13
	;; [unrolled: 1-line block ×4, first 2 shown]
.LBB12_2:                               ; =>This Inner Loop Header: Depth=1
	v_add_u32_e32 v10, s22, v8
	v_ashrrev_i32_e32 v11, 31, v10
	v_lshlrev_b64 v[10:11], 2, v[10:11]
	v_add_co_u32_e32 v12, vcc, s16, v10
	v_addc_co_u32_e32 v13, vcc, v1, v11, vcc
	v_add_co_u32_e32 v10, vcc, s12, v10
	v_addc_co_u32_e32 v11, vcc, v6, v11, vcc
	global_load_dword v9, v[12:13], off
	global_load_dword v14, v[10:11], off
	;; [unrolled: 1-line block ×3, first 2 shown]
	v_add_co_u32_e32 v4, vcc, s14, v4
	v_add_u32_e32 v8, s23, v8
	v_addc_co_u32_e32 v5, vcc, v5, v7, vcc
	v_cmp_le_i32_e32 vcc, s20, v8
	s_or_b64 s[6:7], vcc, s[6:7]
	s_waitcnt vmcnt(1)
	v_pk_add_f16 v9, v9, v14
	s_waitcnt vmcnt(0)
	v_pk_add_f16 v9, v9, v15
	v_cvt_f32_f16_e32 v10, v9
	v_cvt_f32_f16_sdwa v11, v9 dst_sel:DWORD dst_unused:UNUSED_PAD src0_sel:WORD_1
	global_store_dword v[12:13], v9, off
	v_add_f32_e32 v3, v3, v10
	v_add_f32_e32 v3, v3, v11
	s_andn2_b64 exec, exec, s[6:7]
	s_cbranch_execnz .LBB12_2
; %bb.3:
	s_or_b64 exec, exec, s[6:7]
.LBB12_4:
	s_or_b64 exec, exec, s[2:3]
	v_mbcnt_lo_u32_b32 v1, -1, 0
	v_mbcnt_hi_u32_b32 v4, -1, v1
	v_and_b32_e32 v1, 64, v4
	v_add_u32_e32 v9, 64, v1
	v_xor_b32_e32 v1, 32, v4
	v_cmp_lt_i32_e32 vcc, v1, v9
	v_cndmask_b32_e32 v1, v4, v1, vcc
	v_lshlrev_b32_e32 v1, 2, v1
	ds_bpermute_b32 v5, v1, v3
	v_xor_b32_e32 v6, 16, v4
	v_cmp_lt_i32_e32 vcc, v6, v9
	v_xor_b32_e32 v7, 8, v4
	v_xor_b32_e32 v8, 4, v4
	s_waitcnt lgkmcnt(0)
	v_add_f32_e32 v5, v3, v5
	v_cndmask_b32_e32 v3, v4, v6, vcc
	v_lshlrev_b32_e32 v3, 2, v3
	ds_bpermute_b32 v6, v3, v5
	v_cmp_lt_i32_e32 vcc, v7, v9
	v_xor_b32_e32 v10, 2, v4
	v_xor_b32_e32 v11, 1, v4
	s_waitcnt lgkmcnt(0)
	v_add_f32_e32 v5, v5, v6
	v_cndmask_b32_e32 v6, v4, v7, vcc
	v_lshlrev_b32_e32 v6, 2, v6
	ds_bpermute_b32 v7, v6, v5
	v_cmp_lt_i32_e32 vcc, v8, v9
	s_waitcnt lgkmcnt(0)
	v_add_f32_e32 v5, v5, v7
	v_cndmask_b32_e32 v7, v4, v8, vcc
	v_lshlrev_b32_e32 v7, 2, v7
	ds_bpermute_b32 v8, v7, v5
	v_cmp_lt_i32_e32 vcc, v10, v9
	;; [unrolled: 6-line block ×3, first 2 shown]
	v_cndmask_b32_e32 v4, v4, v11, vcc
	v_lshlrev_b32_e32 v9, 2, v4
	v_and_b32_e32 v4, 63, v0
	s_waitcnt lgkmcnt(0)
	v_add_f32_e32 v5, v5, v10
	ds_bpermute_b32 v10, v9, v5
	v_cmp_eq_u32_e64 s[2:3], 0, v4
	v_lshrrev_b32_e32 v11, 4, v0
	s_and_saveexec_b64 s[6:7], s[2:3]
	s_cbranch_execz .LBB12_6
; %bb.5:
	s_waitcnt lgkmcnt(0)
	v_add_f32_e32 v5, v5, v10
	ds_write_b32 v11, v5
.LBB12_6:
	s_or_b64 exec, exec, s[6:7]
	s_waitcnt lgkmcnt(0)
	s_barrier
	s_load_dword s14, s[4:5], 0x3c
	v_mov_b32_e32 v5, 0
	v_lshlrev_b32_e32 v12, 2, v4
	s_waitcnt lgkmcnt(0)
	s_bfe_u32 s4, s14, 0xa0006
	v_cmp_gt_u32_e64 s[4:5], s4, v0
	s_and_saveexec_b64 s[6:7], s[4:5]
	s_cbranch_execz .LBB12_8
; %bb.7:
	ds_read_b32 v5, v12
.LBB12_8:
	s_or_b64 exec, exec, s[6:7]
	s_waitcnt lgkmcnt(0)
	ds_bpermute_b32 v4, v1, v5
	v_cvt_f32_i32_e32 v10, s19
	v_cmp_eq_u32_e64 s[6:7], 0, v0
	s_waitcnt lgkmcnt(0)
	v_add_f32_e32 v4, v5, v4
	ds_bpermute_b32 v5, v3, v4
	s_waitcnt lgkmcnt(0)
	v_add_f32_e32 v4, v4, v5
	ds_bpermute_b32 v5, v6, v4
	;; [unrolled: 3-line block ×5, first 2 shown]
	s_and_saveexec_b64 s[12:13], s[6:7]
	s_cbranch_execz .LBB12_10
; %bb.9:
	s_waitcnt lgkmcnt(0)
	v_add_f32_e32 v4, v4, v5
	v_div_scale_f32 v5, s[22:23], v10, v10, v4
	v_rcp_f32_e32 v13, v5
	v_div_scale_f32 v14, vcc, v4, v10, v4
	v_fma_f32 v15, -v5, v13, 1.0
	v_fmac_f32_e32 v13, v15, v13
	v_mul_f32_e32 v15, v14, v13
	v_fma_f32 v16, -v5, v15, v14
	v_fmac_f32_e32 v15, v16, v13
	v_fma_f32 v5, -v5, v15, v14
	v_div_fmas_f32 v5, v5, v13, v15
	v_div_fixup_f32 v4, v5, v10, v4
	v_mov_b32_e32 v5, 0
	ds_write_b32 v5, v4 offset:68
.LBB12_10:
	s_or_b64 exec, exec, s[12:13]
	s_and_b32 s19, s14, 0xffff
	v_mov_b32_e32 v13, 0
	s_waitcnt lgkmcnt(0)
	s_barrier
	s_and_saveexec_b64 s[12:13], s[0:1]
	s_cbranch_execz .LBB12_14
; %bb.11:
	v_mov_b32_e32 v13, 0
	ds_read_b32 v4, v13 offset:68
	s_lshr_b32 s22, s21, 1
	s_mov_b64 s[14:15], 0
	v_mov_b32_e32 v14, s17
	v_mov_b32_e32 v15, v0
	s_waitcnt lgkmcnt(0)
	v_mov_b32_e32 v5, v4
.LBB12_12:                              ; =>This Inner Loop Header: Depth=1
	v_add_u32_e32 v16, s22, v15
	v_ashrrev_i32_e32 v17, 31, v16
	v_lshlrev_b64 v[16:17], 2, v[16:17]
	v_add_co_u32_e32 v16, vcc, s16, v16
	v_addc_co_u32_e32 v17, vcc, v14, v17, vcc
	global_load_dword v17, v[16:17], off
	v_add_u32_e32 v15, s19, v15
	v_cmp_le_i32_e32 vcc, s20, v15
	s_or_b64 s[14:15], vcc, s[14:15]
	s_waitcnt vmcnt(0)
	v_cvt_f32_f16_e32 v16, v17
	v_cvt_f32_f16_sdwa v17, v17 dst_sel:DWORD dst_unused:UNUSED_PAD src0_sel:WORD_1
	v_pk_add_f32 v[16:17], v[16:17], v[4:5] neg_lo:[0,1] neg_hi:[0,1]
	v_pk_mul_f32 v[16:17], v[16:17], v[16:17]
	v_add_f32_e32 v13, v13, v16
	v_add_f32_e32 v13, v13, v17
	s_andn2_b64 exec, exec, s[14:15]
	s_cbranch_execnz .LBB12_12
; %bb.13:
	s_or_b64 exec, exec, s[14:15]
.LBB12_14:
	s_or_b64 exec, exec, s[12:13]
	ds_bpermute_b32 v4, v1, v13
	s_waitcnt lgkmcnt(0)
	v_add_f32_e32 v4, v13, v4
	ds_bpermute_b32 v5, v3, v4
	s_waitcnt lgkmcnt(0)
	v_add_f32_e32 v4, v4, v5
	;; [unrolled: 3-line block ×5, first 2 shown]
	ds_bpermute_b32 v5, v9, v4
	s_and_saveexec_b64 s[12:13], s[2:3]
	s_cbranch_execz .LBB12_16
; %bb.15:
	s_waitcnt lgkmcnt(0)
	v_add_f32_e32 v4, v4, v5
	ds_write_b32 v11, v4
.LBB12_16:
	s_or_b64 exec, exec, s[12:13]
	v_mov_b32_e32 v4, 0
	s_waitcnt lgkmcnt(0)
	s_barrier
	s_and_saveexec_b64 s[2:3], s[4:5]
	s_cbranch_execz .LBB12_18
; %bb.17:
	ds_read_b32 v4, v12
.LBB12_18:
	s_or_b64 exec, exec, s[2:3]
	s_waitcnt lgkmcnt(0)
	ds_bpermute_b32 v1, v1, v4
	s_waitcnt lgkmcnt(0)
	v_add_f32_e32 v1, v4, v1
	ds_bpermute_b32 v3, v3, v1
	s_waitcnt lgkmcnt(0)
	v_add_f32_e32 v1, v1, v3
	;; [unrolled: 3-line block ×5, first 2 shown]
	ds_bpermute_b32 v3, v9, v1
	s_and_saveexec_b64 s[2:3], s[6:7]
	s_cbranch_execz .LBB12_20
; %bb.19:
	s_waitcnt lgkmcnt(0)
	v_add_f32_e32 v1, v1, v3
	v_div_scale_f32 v3, s[4:5], v10, v10, v1
	v_rcp_f32_e32 v4, v3
	v_div_scale_f32 v5, vcc, v1, v10, v1
	s_mov_b32 s4, 0x800000
	v_fma_f32 v6, -v3, v4, 1.0
	v_fmac_f32_e32 v4, v6, v4
	v_mul_f32_e32 v6, v5, v4
	v_fma_f32 v7, -v3, v6, v5
	v_fmac_f32_e32 v6, v7, v4
	v_fma_f32 v3, -v3, v6, v5
	v_div_fmas_f32 v3, v3, v4, v6
	v_div_fixup_f32 v1, v3, v10, v1
	v_add_f32_e32 v1, s18, v1
	v_mul_f32_e32 v3, 0x4b800000, v1
	v_cmp_gt_f32_e32 vcc, s4, v1
	v_cndmask_b32_e32 v1, v1, v3, vcc
	v_rsq_f32_e32 v1, v1
	v_mul_f32_e32 v3, 0x45800000, v1
	v_cndmask_b32_e32 v1, v1, v3, vcc
	v_mov_b32_e32 v3, 0
	ds_write_b32 v3, v1 offset:64
.LBB12_20:
	s_or_b64 exec, exec, s[2:3]
	s_waitcnt lgkmcnt(0)
	s_barrier
	s_and_saveexec_b64 s[2:3], s[0:1]
	s_cbranch_execz .LBB12_23
; %bb.21:
	v_mov_b32_e32 v1, 0
	ds_read_b64 v[4:5], v1 offset:64
	s_mov_b32 s4, 0
	s_lshr_b32 s2, s21, 1
	s_lshl_b32 s3, s19, 2
	s_mov_b64 s[0:1], 0
	s_waitcnt lgkmcnt(0)
	v_mov_b32_e32 v6, v5
	v_mov_b32_e32 v7, v5
	;; [unrolled: 1-line block ×7, first 2 shown]
.LBB12_22:                              ; =>This Inner Loop Header: Depth=1
	v_add_co_u32_e32 v14, vcc, s8, v2
	v_add_u32_e32 v12, s2, v0
	v_addc_co_u32_e32 v15, vcc, v8, v1, vcc
	v_add_co_u32_e32 v16, vcc, s10, v2
	v_ashrrev_i32_e32 v13, 31, v12
	v_addc_co_u32_e32 v17, vcc, v9, v1, vcc
	v_lshlrev_b64 v[12:13], 2, v[12:13]
	v_add_co_u32_e32 v12, vcc, s16, v12
	v_addc_co_u32_e32 v13, vcc, v3, v13, vcc
	global_load_dword v11, v[14:15], off
	global_load_dword v19, v[12:13], off
	;; [unrolled: 1-line block ×3, first 2 shown]
	v_add_co_u32_e32 v2, vcc, s3, v2
	v_add_u32_e32 v0, s19, v0
	v_addc_co_u32_e32 v1, vcc, v1, v10, vcc
	v_cmp_le_i32_e32 vcc, s20, v0
	s_or_b64 s[0:1], vcc, s[0:1]
	s_waitcnt vmcnt(2)
	v_cvt_f32_f16_e32 v14, v11
	s_waitcnt vmcnt(1)
	v_cvt_f32_f16_e32 v18, v19
	v_cvt_f32_f16_sdwa v19, v19 dst_sel:DWORD dst_unused:UNUSED_PAD src0_sel:WORD_1
	v_cvt_f32_f16_sdwa v15, v11 dst_sel:DWORD dst_unused:UNUSED_PAD src0_sel:WORD_1
	s_waitcnt vmcnt(0)
	v_cvt_f32_f16_e32 v16, v20
	v_cvt_f32_f16_sdwa v17, v20 dst_sel:DWORD dst_unused:UNUSED_PAD src0_sel:WORD_1
	v_pk_add_f32 v[18:19], v[18:19], v[6:7] neg_lo:[0,1] neg_hi:[0,1]
	v_pk_mul_f32 v[18:19], v[18:19], v[4:5]
	v_pk_fma_f32 v[14:15], v[18:19], v[14:15], v[16:17]
	v_cvt_f16_f32_e32 v11, v15
	v_cvt_f16_f32_e32 v14, v14
	v_pack_b32_f16 v11, v14, v11
	global_store_dword v[12:13], v11, off
	s_andn2_b64 exec, exec, s[0:1]
	s_cbranch_execnz .LBB12_22
.LBB12_23:
	s_endpgm
	.section	.rodata,"a",@progbits
	.p2align	6, 0x0
	.amdhsa_kernel _Z35generalAddBiasResidualPostLayerNormI6__halfLi64EEvPT_PKS1_S4_S4_S4_fi
		.amdhsa_group_segment_fixed_size 72
		.amdhsa_private_segment_fixed_size 0
		.amdhsa_kernarg_size 304
		.amdhsa_user_sgpr_count 6
		.amdhsa_user_sgpr_private_segment_buffer 1
		.amdhsa_user_sgpr_dispatch_ptr 0
		.amdhsa_user_sgpr_queue_ptr 0
		.amdhsa_user_sgpr_kernarg_segment_ptr 1
		.amdhsa_user_sgpr_dispatch_id 0
		.amdhsa_user_sgpr_flat_scratch_init 0
		.amdhsa_user_sgpr_kernarg_preload_length 0
		.amdhsa_user_sgpr_kernarg_preload_offset 0
		.amdhsa_user_sgpr_private_segment_size 0
		.amdhsa_uses_dynamic_stack 0
		.amdhsa_system_sgpr_private_segment_wavefront_offset 0
		.amdhsa_system_sgpr_workgroup_id_x 1
		.amdhsa_system_sgpr_workgroup_id_y 0
		.amdhsa_system_sgpr_workgroup_id_z 0
		.amdhsa_system_sgpr_workgroup_info 0
		.amdhsa_system_vgpr_workitem_id 0
		.amdhsa_next_free_vgpr 21
		.amdhsa_next_free_sgpr 25
		.amdhsa_accum_offset 24
		.amdhsa_reserve_vcc 1
		.amdhsa_reserve_flat_scratch 0
		.amdhsa_float_round_mode_32 0
		.amdhsa_float_round_mode_16_64 0
		.amdhsa_float_denorm_mode_32 3
		.amdhsa_float_denorm_mode_16_64 3
		.amdhsa_dx10_clamp 1
		.amdhsa_ieee_mode 1
		.amdhsa_fp16_overflow 0
		.amdhsa_tg_split 0
		.amdhsa_exception_fp_ieee_invalid_op 0
		.amdhsa_exception_fp_denorm_src 0
		.amdhsa_exception_fp_ieee_div_zero 0
		.amdhsa_exception_fp_ieee_overflow 0
		.amdhsa_exception_fp_ieee_underflow 0
		.amdhsa_exception_fp_ieee_inexact 0
		.amdhsa_exception_int_div_zero 0
	.end_amdhsa_kernel
	.section	.text._Z35generalAddBiasResidualPostLayerNormI6__halfLi64EEvPT_PKS1_S4_S4_S4_fi,"axG",@progbits,_Z35generalAddBiasResidualPostLayerNormI6__halfLi64EEvPT_PKS1_S4_S4_S4_fi,comdat
.Lfunc_end12:
	.size	_Z35generalAddBiasResidualPostLayerNormI6__halfLi64EEvPT_PKS1_S4_S4_S4_fi, .Lfunc_end12-_Z35generalAddBiasResidualPostLayerNormI6__halfLi64EEvPT_PKS1_S4_S4_S4_fi
                                        ; -- End function
	.section	.AMDGPU.csdata,"",@progbits
; Kernel info:
; codeLenInByte = 1632
; NumSgprs: 29
; NumVgprs: 21
; NumAgprs: 0
; TotalNumVgprs: 21
; ScratchSize: 0
; MemoryBound: 0
; FloatMode: 240
; IeeeMode: 1
; LDSByteSize: 72 bytes/workgroup (compile time only)
; SGPRBlocks: 3
; VGPRBlocks: 2
; NumSGPRsForWavesPerEU: 29
; NumVGPRsForWavesPerEU: 21
; AccumOffset: 24
; Occupancy: 8
; WaveLimiterHint : 0
; COMPUTE_PGM_RSRC2:SCRATCH_EN: 0
; COMPUTE_PGM_RSRC2:USER_SGPR: 6
; COMPUTE_PGM_RSRC2:TRAP_HANDLER: 0
; COMPUTE_PGM_RSRC2:TGID_X_EN: 1
; COMPUTE_PGM_RSRC2:TGID_Y_EN: 0
; COMPUTE_PGM_RSRC2:TGID_Z_EN: 0
; COMPUTE_PGM_RSRC2:TIDIG_COMP_CNT: 0
; COMPUTE_PGM_RSRC3_GFX90A:ACCUM_OFFSET: 5
; COMPUTE_PGM_RSRC3_GFX90A:TG_SPLIT: 0
	.section	.text._Z28addBiasResidualPostLayerNormI6__halfLi1ELi32EEvPT_PKS1_S4_S4_S4_fi,"axG",@progbits,_Z28addBiasResidualPostLayerNormI6__halfLi1ELi32EEvPT_PKS1_S4_S4_S4_fi,comdat
	.protected	_Z28addBiasResidualPostLayerNormI6__halfLi1ELi32EEvPT_PKS1_S4_S4_S4_fi ; -- Begin function _Z28addBiasResidualPostLayerNormI6__halfLi1ELi32EEvPT_PKS1_S4_S4_S4_fi
	.globl	_Z28addBiasResidualPostLayerNormI6__halfLi1ELi32EEvPT_PKS1_S4_S4_S4_fi
	.p2align	8
	.type	_Z28addBiasResidualPostLayerNormI6__halfLi1ELi32EEvPT_PKS1_S4_S4_S4_fi,@function
_Z28addBiasResidualPostLayerNormI6__halfLi1ELi32EEvPT_PKS1_S4_S4_S4_fi: ; @_Z28addBiasResidualPostLayerNormI6__halfLi1ELi32EEvPT_PKS1_S4_S4_S4_fi
; %bb.0:
	s_load_dwordx2 s[12:13], s[4:5], 0x28
	s_load_dwordx2 s[10:11], s[4:5], 0x0
	v_mov_b32_e32 v5, 0
	v_lshlrev_b32_e32 v1, 1, v0
                                        ; implicit-def: $vgpr4
	s_waitcnt lgkmcnt(0)
	s_mul_i32 s6, s6, s13
	v_cmp_gt_i32_e64 s[0:1], s13, v0
	v_add_u32_e32 v2, s6, v0
	s_and_saveexec_b64 s[2:3], s[0:1]
	s_cbranch_execz .LBB13_2
; %bb.1:
	s_load_dwordx4 s[16:19], s[4:5], 0x8
	v_mov_b32_e32 v3, 0
	v_lshlrev_b64 v[4:5], 1, v[2:3]
	v_mov_b32_e32 v3, s11
	v_add_co_u32_e32 v6, vcc, s10, v4
	v_addc_co_u32_e32 v7, vcc, v3, v5, vcc
	global_load_ushort v3, v[6:7], off
	s_waitcnt lgkmcnt(0)
	v_mov_b32_e32 v6, s17
	v_add_co_u32_e32 v4, vcc, s16, v4
	v_addc_co_u32_e32 v5, vcc, v6, v5, vcc
	global_load_ushort v6, v[4:5], off
	global_load_ushort v7, v1, s[18:19]
	s_waitcnt vmcnt(1)
	v_add_f16_e32 v3, v3, v6
	s_waitcnt vmcnt(0)
	v_add_f16_e32 v3, v3, v7
	v_cvt_f32_f16_e32 v4, v3
	v_add_f32_e32 v5, 0, v4
.LBB13_2:
	s_or_b64 exec, exec, s[2:3]
	v_mbcnt_lo_u32_b32 v3, -1, 0
	v_mbcnt_hi_u32_b32 v8, -1, v3
	v_and_b32_e32 v3, 0x60, v8
	v_add_u32_e32 v9, 32, v3
	v_xor_b32_e32 v3, 16, v8
	v_cmp_lt_i32_e32 vcc, v3, v9
	v_cndmask_b32_e32 v3, v8, v3, vcc
	v_lshlrev_b32_e32 v3, 2, v3
	ds_bpermute_b32 v6, v3, v5
	v_xor_b32_e32 v7, 8, v8
	v_cmp_lt_i32_e32 vcc, v7, v9
	v_xor_b32_e32 v10, 4, v8
	v_xor_b32_e32 v11, 2, v8
	s_waitcnt lgkmcnt(0)
	v_add_f32_e32 v6, v5, v6
	v_cndmask_b32_e32 v5, v8, v7, vcc
	v_lshlrev_b32_e32 v5, 2, v5
	ds_bpermute_b32 v7, v5, v6
	v_cmp_lt_i32_e32 vcc, v10, v9
	v_xor_b32_e32 v12, 1, v8
	s_waitcnt lgkmcnt(0)
	v_add_f32_e32 v7, v6, v7
	v_cndmask_b32_e32 v6, v8, v10, vcc
	v_lshlrev_b32_e32 v6, 2, v6
	ds_bpermute_b32 v10, v6, v7
	v_cmp_lt_i32_e32 vcc, v11, v9
	s_waitcnt lgkmcnt(0)
	v_add_f32_e32 v10, v7, v10
	v_cndmask_b32_e32 v7, v8, v11, vcc
	v_lshlrev_b32_e32 v7, 2, v7
	ds_bpermute_b32 v11, v7, v10
	v_cmp_lt_i32_e32 vcc, v12, v9
	v_cndmask_b32_e32 v8, v8, v12, vcc
	v_lshlrev_b32_e32 v8, 2, v8
	v_and_b32_e32 v9, 31, v0
	s_waitcnt lgkmcnt(0)
	v_add_f32_e32 v11, v10, v11
	ds_bpermute_b32 v12, v8, v11
	v_cmp_eq_u32_e64 s[2:3], 0, v9
	v_lshrrev_b32_e32 v10, 3, v0
	s_and_saveexec_b64 s[6:7], s[2:3]
	s_cbranch_execz .LBB13_4
; %bb.3:
	s_waitcnt lgkmcnt(0)
	v_add_f32_e32 v11, v11, v12
	ds_write_b32 v10, v11
.LBB13_4:
	s_or_b64 exec, exec, s[6:7]
	s_waitcnt lgkmcnt(0)
	s_barrier
	s_load_dword s6, s[4:5], 0x3c
	v_mov_b32_e32 v12, 0
	v_lshlrev_b32_e32 v11, 2, v9
	s_waitcnt lgkmcnt(0)
	s_bfe_u32 s6, s6, 0xb0005
	v_cmp_gt_u32_e64 s[6:7], s6, v0
	s_and_saveexec_b64 s[8:9], s[6:7]
	s_cbranch_execz .LBB13_6
; %bb.5:
	ds_read_b32 v12, v11
.LBB13_6:
	s_or_b64 exec, exec, s[8:9]
	s_waitcnt lgkmcnt(0)
	ds_bpermute_b32 v9, v3, v12
	v_cmp_eq_u32_e64 s[8:9], 0, v0
	s_waitcnt lgkmcnt(0)
	v_add_f32_e32 v9, v12, v9
	ds_bpermute_b32 v12, v5, v9
	s_waitcnt lgkmcnt(0)
	v_add_f32_e32 v9, v9, v12
	ds_bpermute_b32 v12, v6, v9
	;; [unrolled: 3-line block ×4, first 2 shown]
	v_cvt_f32_i32_e32 v9, s13
	s_and_saveexec_b64 s[14:15], s[8:9]
	s_cbranch_execz .LBB13_8
; %bb.7:
	s_waitcnt lgkmcnt(0)
	v_add_f32_e32 v0, v12, v13
	v_div_scale_f32 v12, s[16:17], v9, v9, v0
	v_rcp_f32_e32 v13, v12
	v_div_scale_f32 v14, vcc, v0, v9, v0
	v_fma_f32 v15, -v12, v13, 1.0
	v_fmac_f32_e32 v13, v15, v13
	v_mul_f32_e32 v15, v14, v13
	v_fma_f32 v16, -v12, v15, v14
	v_fmac_f32_e32 v15, v16, v13
	v_fma_f32 v12, -v12, v15, v14
	v_div_fmas_f32 v12, v12, v13, v15
	v_div_fixup_f32 v0, v12, v9, v0
	v_mov_b32_e32 v12, 0
	ds_write_b32 v12, v0 offset:132
.LBB13_8:
	s_or_b64 exec, exec, s[14:15]
	v_mov_b32_e32 v0, 0
	s_waitcnt lgkmcnt(0)
	s_barrier
	ds_read_b32 v12, v0 offset:132
	s_waitcnt lgkmcnt(0)
	v_sub_f32_e32 v12, v4, v12
	v_mul_f32_e32 v12, v12, v12
	v_cndmask_b32_e64 v12, 0, v12, s[0:1]
	ds_bpermute_b32 v13, v3, v12
	s_waitcnt lgkmcnt(0)
	v_add_f32_e32 v12, v12, v13
	ds_bpermute_b32 v13, v5, v12
	s_waitcnt lgkmcnt(0)
	v_add_f32_e32 v12, v12, v13
	;; [unrolled: 3-line block ×4, first 2 shown]
	ds_bpermute_b32 v13, v8, v12
	s_and_saveexec_b64 s[14:15], s[2:3]
	s_cbranch_execz .LBB13_10
; %bb.9:
	s_waitcnt lgkmcnt(0)
	v_add_f32_e32 v12, v12, v13
	ds_write_b32 v10, v12
.LBB13_10:
	s_or_b64 exec, exec, s[14:15]
	s_waitcnt lgkmcnt(0)
	s_barrier
	s_and_saveexec_b64 s[2:3], s[6:7]
	s_cbranch_execz .LBB13_12
; %bb.11:
	ds_read_b32 v0, v11
.LBB13_12:
	s_or_b64 exec, exec, s[2:3]
	s_waitcnt lgkmcnt(0)
	ds_bpermute_b32 v3, v3, v0
	s_waitcnt lgkmcnt(0)
	v_add_f32_e32 v0, v0, v3
	ds_bpermute_b32 v3, v5, v0
	s_waitcnt lgkmcnt(0)
	v_add_f32_e32 v0, v0, v3
	;; [unrolled: 3-line block ×4, first 2 shown]
	ds_bpermute_b32 v3, v8, v0
	s_and_saveexec_b64 s[2:3], s[8:9]
	s_cbranch_execz .LBB13_14
; %bb.13:
	s_waitcnt lgkmcnt(0)
	v_add_f32_e32 v0, v0, v3
	v_div_scale_f32 v3, s[6:7], v9, v9, v0
	v_rcp_f32_e32 v5, v3
	v_div_scale_f32 v6, vcc, v0, v9, v0
	v_fma_f32 v7, -v3, v5, 1.0
	v_fmac_f32_e32 v5, v7, v5
	v_mul_f32_e32 v7, v6, v5
	v_fma_f32 v8, -v3, v7, v6
	v_fmac_f32_e32 v7, v8, v5
	v_fma_f32 v3, -v3, v7, v6
	v_div_fmas_f32 v3, v3, v5, v7
	v_div_fixup_f32 v0, v3, v9, v0
	v_add_f32_e32 v0, s12, v0
	v_mov_b32_e32 v3, 0
	ds_write_b32 v3, v0 offset:128
.LBB13_14:
	s_or_b64 exec, exec, s[2:3]
	s_waitcnt lgkmcnt(0)
	s_barrier
	s_and_saveexec_b64 s[2:3], s[0:1]
	s_cbranch_execz .LBB13_16
; %bb.15:
	s_load_dwordx4 s[0:3], s[4:5], 0x18
	v_mov_b32_e32 v3, 0
	s_waitcnt lgkmcnt(0)
	global_load_ushort v5, v1, s[0:1]
	global_load_ushort v6, v1, s[2:3]
	ds_read_b64 v[0:1], v3 offset:128
	s_mov_b32 s0, 0x800000
	v_lshlrev_b64 v[2:3], 1, v[2:3]
	s_waitcnt lgkmcnt(0)
	v_mul_f32_e32 v7, 0x4b800000, v0
	v_cmp_gt_f32_e32 vcc, s0, v0
	v_cndmask_b32_e32 v0, v0, v7, vcc
	v_rsq_f32_e32 v0, v0
	v_sub_f32_e32 v1, v4, v1
	v_mov_b32_e32 v7, s11
	v_mul_f32_e32 v4, 0x45800000, v0
	v_cndmask_b32_e32 v0, v0, v4, vcc
	v_mul_f32_e32 v0, v1, v0
	s_waitcnt vmcnt(0)
	v_fma_mixlo_f16 v4, v0, v5, v6 op_sel_hi:[0,1,1]
	v_add_co_u32_e32 v0, vcc, s10, v2
	v_addc_co_u32_e32 v1, vcc, v7, v3, vcc
	global_store_short v[0:1], v4, off
.LBB13_16:
	s_endpgm
	.section	.rodata,"a",@progbits
	.p2align	6, 0x0
	.amdhsa_kernel _Z28addBiasResidualPostLayerNormI6__halfLi1ELi32EEvPT_PKS1_S4_S4_S4_fi
		.amdhsa_group_segment_fixed_size 136
		.amdhsa_private_segment_fixed_size 0
		.amdhsa_kernarg_size 304
		.amdhsa_user_sgpr_count 6
		.amdhsa_user_sgpr_private_segment_buffer 1
		.amdhsa_user_sgpr_dispatch_ptr 0
		.amdhsa_user_sgpr_queue_ptr 0
		.amdhsa_user_sgpr_kernarg_segment_ptr 1
		.amdhsa_user_sgpr_dispatch_id 0
		.amdhsa_user_sgpr_flat_scratch_init 0
		.amdhsa_user_sgpr_kernarg_preload_length 0
		.amdhsa_user_sgpr_kernarg_preload_offset 0
		.amdhsa_user_sgpr_private_segment_size 0
		.amdhsa_uses_dynamic_stack 0
		.amdhsa_system_sgpr_private_segment_wavefront_offset 0
		.amdhsa_system_sgpr_workgroup_id_x 1
		.amdhsa_system_sgpr_workgroup_id_y 0
		.amdhsa_system_sgpr_workgroup_id_z 0
		.amdhsa_system_sgpr_workgroup_info 0
		.amdhsa_system_vgpr_workitem_id 0
		.amdhsa_next_free_vgpr 17
		.amdhsa_next_free_sgpr 20
		.amdhsa_accum_offset 20
		.amdhsa_reserve_vcc 1
		.amdhsa_reserve_flat_scratch 0
		.amdhsa_float_round_mode_32 0
		.amdhsa_float_round_mode_16_64 0
		.amdhsa_float_denorm_mode_32 3
		.amdhsa_float_denorm_mode_16_64 3
		.amdhsa_dx10_clamp 1
		.amdhsa_ieee_mode 1
		.amdhsa_fp16_overflow 0
		.amdhsa_tg_split 0
		.amdhsa_exception_fp_ieee_invalid_op 0
		.amdhsa_exception_fp_denorm_src 0
		.amdhsa_exception_fp_ieee_div_zero 0
		.amdhsa_exception_fp_ieee_overflow 0
		.amdhsa_exception_fp_ieee_underflow 0
		.amdhsa_exception_fp_ieee_inexact 0
		.amdhsa_exception_int_div_zero 0
	.end_amdhsa_kernel
	.section	.text._Z28addBiasResidualPostLayerNormI6__halfLi1ELi32EEvPT_PKS1_S4_S4_S4_fi,"axG",@progbits,_Z28addBiasResidualPostLayerNormI6__halfLi1ELi32EEvPT_PKS1_S4_S4_S4_fi,comdat
.Lfunc_end13:
	.size	_Z28addBiasResidualPostLayerNormI6__halfLi1ELi32EEvPT_PKS1_S4_S4_S4_fi, .Lfunc_end13-_Z28addBiasResidualPostLayerNormI6__halfLi1ELi32EEvPT_PKS1_S4_S4_S4_fi
                                        ; -- End function
	.section	.AMDGPU.csdata,"",@progbits
; Kernel info:
; codeLenInByte = 1136
; NumSgprs: 24
; NumVgprs: 17
; NumAgprs: 0
; TotalNumVgprs: 17
; ScratchSize: 0
; MemoryBound: 0
; FloatMode: 240
; IeeeMode: 1
; LDSByteSize: 136 bytes/workgroup (compile time only)
; SGPRBlocks: 2
; VGPRBlocks: 2
; NumSGPRsForWavesPerEU: 24
; NumVGPRsForWavesPerEU: 17
; AccumOffset: 20
; Occupancy: 8
; WaveLimiterHint : 0
; COMPUTE_PGM_RSRC2:SCRATCH_EN: 0
; COMPUTE_PGM_RSRC2:USER_SGPR: 6
; COMPUTE_PGM_RSRC2:TRAP_HANDLER: 0
; COMPUTE_PGM_RSRC2:TGID_X_EN: 1
; COMPUTE_PGM_RSRC2:TGID_Y_EN: 0
; COMPUTE_PGM_RSRC2:TGID_Z_EN: 0
; COMPUTE_PGM_RSRC2:TIDIG_COMP_CNT: 0
; COMPUTE_PGM_RSRC3_GFX90A:ACCUM_OFFSET: 4
; COMPUTE_PGM_RSRC3_GFX90A:TG_SPLIT: 0
	.section	.text._Z28addBiasResidualPostLayerNormI6__halfLi2ELi32EEvPT_PKS1_S4_S4_S4_fi,"axG",@progbits,_Z28addBiasResidualPostLayerNormI6__halfLi2ELi32EEvPT_PKS1_S4_S4_S4_fi,comdat
	.protected	_Z28addBiasResidualPostLayerNormI6__halfLi2ELi32EEvPT_PKS1_S4_S4_S4_fi ; -- Begin function _Z28addBiasResidualPostLayerNormI6__halfLi2ELi32EEvPT_PKS1_S4_S4_S4_fi
	.globl	_Z28addBiasResidualPostLayerNormI6__halfLi2ELi32EEvPT_PKS1_S4_S4_S4_fi
	.p2align	8
	.type	_Z28addBiasResidualPostLayerNormI6__halfLi2ELi32EEvPT_PKS1_S4_S4_S4_fi,@function
_Z28addBiasResidualPostLayerNormI6__halfLi2ELi32EEvPT_PKS1_S4_S4_S4_fi: ; @_Z28addBiasResidualPostLayerNormI6__halfLi2ELi32EEvPT_PKS1_S4_S4_S4_fi
; %bb.0:
	s_load_dwordx2 s[14:15], s[4:5], 0x28
	s_load_dwordx2 s[12:13], s[4:5], 0x0
	v_mov_b32_e32 v7, 0
	v_lshlrev_b32_e32 v6, 1, v0
                                        ; implicit-def: $vgpr4
	s_waitcnt lgkmcnt(0)
	s_mul_i32 s16, s6, s15
	v_cmp_gt_i32_e64 s[0:1], s15, v0
	v_add_u32_e32 v2, s16, v0
	s_and_saveexec_b64 s[2:3], s[0:1]
	s_cbranch_execz .LBB14_4
; %bb.1:
	s_load_dwordx4 s[8:11], s[4:5], 0x8
	s_load_dword s6, s[4:5], 0x3c
	v_mov_b32_e32 v3, 0
	v_lshlrev_b64 v[4:5], 1, v[2:3]
	v_mov_b32_e32 v1, s13
	v_add_co_u32_e32 v8, vcc, s12, v4
	v_addc_co_u32_e32 v9, vcc, v1, v5, vcc
	s_waitcnt lgkmcnt(0)
	v_mov_b32_e32 v7, s9
	v_add_co_u32_e32 v4, vcc, s8, v4
	global_load_ushort v1, v[8:9], off
	v_addc_co_u32_e32 v5, vcc, v7, v5, vcc
	global_load_ushort v7, v[4:5], off
	global_load_ushort v8, v6, s[10:11]
	s_and_b32 s17, s6, 0xffff
	s_waitcnt vmcnt(1)
	v_add_f16_e32 v1, v1, v7
	s_waitcnt vmcnt(0)
	v_add_f16_e32 v1, v1, v8
	v_cvt_f32_f16_e32 v4, v1
	v_add_u32_e32 v1, s17, v0
	v_cmp_gt_u32_e32 vcc, s15, v1
	v_add_f32_e32 v7, 0, v4
	s_and_saveexec_b64 s[6:7], vcc
	s_cbranch_execz .LBB14_3
; %bb.2:
	v_mov_b32_e32 v5, s11
	v_add_co_u32_e32 v12, vcc, s10, v6
	v_add_u32_e32 v8, s16, v1
	v_mov_b32_e32 v9, v3
	v_addc_co_u32_e32 v5, vcc, 0, v5, vcc
	v_lshlrev_b64 v[8:9], 1, v[8:9]
	v_mov_b32_e32 v1, s13
	v_add_co_u32_e32 v10, vcc, s12, v8
	v_addc_co_u32_e32 v11, vcc, v1, v9, vcc
	v_mov_b32_e32 v3, s9
	v_add_co_u32_e32 v8, vcc, s8, v8
	v_addc_co_u32_e32 v9, vcc, v3, v9, vcc
	s_lshl_b32 s8, s17, 1
	global_load_ushort v3, v[8:9], off
	v_add_co_u32_e32 v8, vcc, s8, v12
	global_load_ushort v1, v[10:11], off
	v_addc_co_u32_e32 v9, vcc, 0, v5, vcc
	global_load_ushort v5, v[8:9], off
	s_waitcnt vmcnt(1)
	v_add_f16_e32 v1, v1, v3
	s_waitcnt vmcnt(0)
	v_add_f16_e32 v1, v1, v5
	v_cvt_f32_f16_e32 v5, v1
	v_add_f32_e32 v7, v7, v5
.LBB14_3:
	s_or_b64 exec, exec, s[6:7]
.LBB14_4:
	s_or_b64 exec, exec, s[2:3]
	v_mbcnt_lo_u32_b32 v1, -1, 0
	v_mbcnt_hi_u32_b32 v10, -1, v1
	v_and_b32_e32 v1, 0x60, v10
	v_add_u32_e32 v12, 32, v1
	v_xor_b32_e32 v1, 16, v10
	v_cmp_lt_i32_e32 vcc, v1, v12
	v_cndmask_b32_e32 v1, v10, v1, vcc
	v_lshlrev_b32_e32 v1, 2, v1
	ds_bpermute_b32 v3, v1, v7
	v_xor_b32_e32 v8, 8, v10
	v_cmp_lt_i32_e32 vcc, v8, v12
	v_xor_b32_e32 v9, 4, v10
	v_xor_b32_e32 v11, 2, v10
	s_waitcnt lgkmcnt(0)
	v_add_f32_e32 v7, v7, v3
	v_cndmask_b32_e32 v3, v10, v8, vcc
	v_lshlrev_b32_e32 v3, 2, v3
	ds_bpermute_b32 v8, v3, v7
	v_cmp_lt_i32_e32 vcc, v9, v12
	v_xor_b32_e32 v13, 1, v10
	s_waitcnt lgkmcnt(0)
	v_add_f32_e32 v7, v7, v8
	v_cndmask_b32_e32 v8, v10, v9, vcc
	v_lshlrev_b32_e32 v8, 2, v8
	ds_bpermute_b32 v9, v8, v7
	v_cmp_lt_i32_e32 vcc, v11, v12
	s_waitcnt lgkmcnt(0)
	v_add_f32_e32 v7, v7, v9
	v_cndmask_b32_e32 v9, v10, v11, vcc
	v_lshlrev_b32_e32 v9, 2, v9
	ds_bpermute_b32 v11, v9, v7
	v_cmp_lt_i32_e32 vcc, v13, v12
	v_lshrrev_b32_e32 v12, 3, v0
	s_waitcnt lgkmcnt(0)
	v_add_f32_e32 v11, v7, v11
	v_cndmask_b32_e32 v7, v10, v13, vcc
	v_lshlrev_b32_e32 v10, 2, v7
	ds_bpermute_b32 v13, v10, v11
	v_and_b32_e32 v7, 31, v0
	v_cmp_eq_u32_e64 s[2:3], 0, v7
	s_and_saveexec_b64 s[6:7], s[2:3]
	s_cbranch_execz .LBB14_6
; %bb.5:
	s_waitcnt lgkmcnt(0)
	v_add_f32_e32 v11, v11, v13
	ds_write_b32 v12, v11
.LBB14_6:
	s_or_b64 exec, exec, s[6:7]
	s_waitcnt lgkmcnt(0)
	s_barrier
	s_load_dword s10, s[4:5], 0x3c
	v_mov_b32_e32 v11, 0
	v_lshlrev_b32_e32 v13, 2, v7
	s_waitcnt lgkmcnt(0)
	s_bfe_u32 s6, s10, 0xb0005
	v_cmp_gt_u32_e64 s[6:7], s6, v0
	s_and_saveexec_b64 s[8:9], s[6:7]
	s_cbranch_execz .LBB14_8
; %bb.7:
	ds_read_b32 v11, v13
.LBB14_8:
	s_or_b64 exec, exec, s[8:9]
	s_waitcnt lgkmcnt(0)
	ds_bpermute_b32 v7, v1, v11
	s_and_b32 s17, s10, 0xffff
	v_cmp_eq_u32_e64 s[8:9], 0, v0
	s_waitcnt lgkmcnt(0)
	v_add_f32_e32 v7, v11, v7
	ds_bpermute_b32 v11, v3, v7
	s_waitcnt lgkmcnt(0)
	v_add_f32_e32 v7, v7, v11
	ds_bpermute_b32 v11, v8, v7
	;; [unrolled: 3-line block ×4, first 2 shown]
	v_cvt_f32_i32_e32 v11, s15
	s_and_saveexec_b64 s[10:11], s[8:9]
	s_cbranch_execz .LBB14_10
; %bb.9:
	s_waitcnt lgkmcnt(0)
	v_add_f32_e32 v7, v7, v14
	v_div_scale_f32 v14, s[18:19], v11, v11, v7
	v_rcp_f32_e32 v15, v14
	v_div_scale_f32 v16, vcc, v7, v11, v7
	v_fma_f32 v17, -v14, v15, 1.0
	v_fmac_f32_e32 v15, v17, v15
	v_mul_f32_e32 v17, v16, v15
	v_fma_f32 v18, -v14, v17, v16
	v_fmac_f32_e32 v17, v18, v15
	v_fma_f32 v14, -v14, v17, v16
	v_div_fmas_f32 v14, v14, v15, v17
	v_div_fixup_f32 v7, v14, v11, v7
	v_mov_b32_e32 v14, 0
	ds_write_b32 v14, v7 offset:132
.LBB14_10:
	s_or_b64 exec, exec, s[10:11]
	s_waitcnt lgkmcnt(0)
	v_mov_b32_e32 v14, 0
	v_add_u32_e32 v7, s17, v0
	s_barrier
	s_and_saveexec_b64 s[10:11], s[0:1]
	s_cbranch_execz .LBB14_12
; %bb.11:
	v_mov_b32_e32 v0, 0
	ds_read_b32 v0, v0 offset:132
	v_cmp_gt_u32_e32 vcc, s15, v7
	s_waitcnt lgkmcnt(0)
	v_pk_add_f32 v[14:15], v[4:5], v[0:1] op_sel_hi:[1,0] neg_lo:[0,1] neg_hi:[0,1]
	v_pk_mul_f32 v[14:15], v[14:15], v[14:15]
	v_add_f32_e32 v0, v14, v15
	v_cndmask_b32_e32 v14, v14, v0, vcc
.LBB14_12:
	s_or_b64 exec, exec, s[10:11]
	ds_bpermute_b32 v0, v1, v14
	s_waitcnt lgkmcnt(0)
	v_add_f32_e32 v0, v14, v0
	ds_bpermute_b32 v14, v3, v0
	s_waitcnt lgkmcnt(0)
	v_add_f32_e32 v0, v0, v14
	;; [unrolled: 3-line block ×4, first 2 shown]
	ds_bpermute_b32 v14, v10, v0
	s_and_saveexec_b64 s[10:11], s[2:3]
	s_cbranch_execz .LBB14_14
; %bb.13:
	s_waitcnt lgkmcnt(0)
	v_add_f32_e32 v0, v0, v14
	ds_write_b32 v12, v0
.LBB14_14:
	s_or_b64 exec, exec, s[10:11]
	v_mov_b32_e32 v0, 0
	s_waitcnt lgkmcnt(0)
	s_barrier
	s_and_saveexec_b64 s[2:3], s[6:7]
	s_cbranch_execz .LBB14_16
; %bb.15:
	ds_read_b32 v0, v13
.LBB14_16:
	s_or_b64 exec, exec, s[2:3]
	s_waitcnt lgkmcnt(0)
	ds_bpermute_b32 v1, v1, v0
	s_waitcnt lgkmcnt(0)
	v_add_f32_e32 v0, v0, v1
	ds_bpermute_b32 v1, v3, v0
	s_waitcnt lgkmcnt(0)
	v_add_f32_e32 v0, v0, v1
	;; [unrolled: 3-line block ×4, first 2 shown]
	ds_bpermute_b32 v1, v10, v0
	s_and_saveexec_b64 s[2:3], s[8:9]
	s_cbranch_execz .LBB14_18
; %bb.17:
	s_waitcnt lgkmcnt(0)
	v_add_f32_e32 v0, v0, v1
	v_div_scale_f32 v1, s[6:7], v11, v11, v0
	v_rcp_f32_e32 v3, v1
	v_div_scale_f32 v8, vcc, v0, v11, v0
	v_fma_f32 v9, -v1, v3, 1.0
	v_fmac_f32_e32 v3, v9, v3
	v_mul_f32_e32 v9, v8, v3
	v_fma_f32 v10, -v1, v9, v8
	v_fmac_f32_e32 v9, v10, v3
	v_fma_f32 v1, -v1, v9, v8
	v_div_fmas_f32 v1, v1, v3, v9
	v_div_fixup_f32 v0, v1, v11, v0
	v_add_f32_e32 v0, s14, v0
	v_mov_b32_e32 v1, 0
	ds_write_b32 v1, v0 offset:128
.LBB14_18:
	s_or_b64 exec, exec, s[2:3]
	s_waitcnt lgkmcnt(0)
	s_barrier
	s_and_saveexec_b64 s[2:3], s[0:1]
	s_cbranch_execz .LBB14_21
; %bb.19:
	s_load_dwordx4 s[4:7], s[4:5], 0x18
	v_mov_b32_e32 v3, 0
	s_mov_b32 s0, 0x800000
	v_lshlrev_b64 v[8:9], 1, v[2:3]
	v_mov_b32_e32 v12, s13
	s_waitcnt lgkmcnt(0)
	global_load_ushort v10, v6, s[4:5]
	global_load_ushort v11, v6, s[6:7]
	ds_read_b64 v[0:1], v3 offset:128
	s_waitcnt lgkmcnt(0)
	v_mul_f32_e32 v2, 0x4b800000, v0
	v_cmp_gt_f32_e32 vcc, s0, v0
	v_cndmask_b32_e32 v0, v0, v2, vcc
	v_rsq_f32_e32 v0, v0
	v_sub_f32_e32 v2, v4, v1
	v_add_co_u32_e64 v8, s[0:1], s12, v8
	v_mul_f32_e32 v4, 0x45800000, v0
	v_cndmask_b32_e32 v0, v0, v4, vcc
	v_mul_f32_e32 v2, v2, v0
	v_addc_co_u32_e64 v9, s[0:1], v12, v9, s[0:1]
	v_cmp_gt_u32_e32 vcc, s15, v7
	s_waitcnt vmcnt(0)
	v_fma_mixlo_f16 v2, v2, v10, v11 op_sel_hi:[0,1,1]
	global_store_short v[8:9], v2, off
	s_and_b64 exec, exec, vcc
	s_cbranch_execz .LBB14_21
; %bb.20:
	v_mov_b32_e32 v2, s5
	v_add_co_u32_e32 v4, vcc, s4, v6
	v_addc_co_u32_e32 v2, vcc, 0, v2, vcc
	v_mov_b32_e32 v8, s7
	v_add_co_u32_e32 v6, vcc, s6, v6
	v_addc_co_u32_e32 v10, vcc, 0, v8, vcc
	s_lshl_b32 s0, s17, 1
	v_add_co_u32_e32 v8, vcc, s0, v4
	v_addc_co_u32_e32 v9, vcc, 0, v2, vcc
	global_load_ushort v4, v[8:9], off
	v_add_co_u32_e32 v8, vcc, s0, v6
	v_addc_co_u32_e32 v9, vcc, 0, v10, vcc
	global_load_ushort v6, v[8:9], off
	v_sub_f32_e32 v1, v5, v1
	v_add_u32_e32 v2, s16, v7
	v_mul_f32_e32 v7, v1, v0
	v_lshlrev_b64 v[0:1], 1, v[2:3]
	v_mov_b32_e32 v5, s13
	v_add_co_u32_e32 v0, vcc, s12, v0
	v_addc_co_u32_e32 v1, vcc, v5, v1, vcc
	s_waitcnt vmcnt(0)
	v_fma_mixlo_f16 v2, v7, v4, v6 op_sel_hi:[0,1,1]
	global_store_short v[0:1], v2, off
.LBB14_21:
	s_endpgm
	.section	.rodata,"a",@progbits
	.p2align	6, 0x0
	.amdhsa_kernel _Z28addBiasResidualPostLayerNormI6__halfLi2ELi32EEvPT_PKS1_S4_S4_S4_fi
		.amdhsa_group_segment_fixed_size 136
		.amdhsa_private_segment_fixed_size 0
		.amdhsa_kernarg_size 304
		.amdhsa_user_sgpr_count 6
		.amdhsa_user_sgpr_private_segment_buffer 1
		.amdhsa_user_sgpr_dispatch_ptr 0
		.amdhsa_user_sgpr_queue_ptr 0
		.amdhsa_user_sgpr_kernarg_segment_ptr 1
		.amdhsa_user_sgpr_dispatch_id 0
		.amdhsa_user_sgpr_flat_scratch_init 0
		.amdhsa_user_sgpr_kernarg_preload_length 0
		.amdhsa_user_sgpr_kernarg_preload_offset 0
		.amdhsa_user_sgpr_private_segment_size 0
		.amdhsa_uses_dynamic_stack 0
		.amdhsa_system_sgpr_private_segment_wavefront_offset 0
		.amdhsa_system_sgpr_workgroup_id_x 1
		.amdhsa_system_sgpr_workgroup_id_y 0
		.amdhsa_system_sgpr_workgroup_id_z 0
		.amdhsa_system_sgpr_workgroup_info 0
		.amdhsa_system_vgpr_workitem_id 0
		.amdhsa_next_free_vgpr 19
		.amdhsa_next_free_sgpr 20
		.amdhsa_accum_offset 20
		.amdhsa_reserve_vcc 1
		.amdhsa_reserve_flat_scratch 0
		.amdhsa_float_round_mode_32 0
		.amdhsa_float_round_mode_16_64 0
		.amdhsa_float_denorm_mode_32 3
		.amdhsa_float_denorm_mode_16_64 3
		.amdhsa_dx10_clamp 1
		.amdhsa_ieee_mode 1
		.amdhsa_fp16_overflow 0
		.amdhsa_tg_split 0
		.amdhsa_exception_fp_ieee_invalid_op 0
		.amdhsa_exception_fp_denorm_src 0
		.amdhsa_exception_fp_ieee_div_zero 0
		.amdhsa_exception_fp_ieee_overflow 0
		.amdhsa_exception_fp_ieee_underflow 0
		.amdhsa_exception_fp_ieee_inexact 0
		.amdhsa_exception_int_div_zero 0
	.end_amdhsa_kernel
	.section	.text._Z28addBiasResidualPostLayerNormI6__halfLi2ELi32EEvPT_PKS1_S4_S4_S4_fi,"axG",@progbits,_Z28addBiasResidualPostLayerNormI6__halfLi2ELi32EEvPT_PKS1_S4_S4_S4_fi,comdat
.Lfunc_end14:
	.size	_Z28addBiasResidualPostLayerNormI6__halfLi2ELi32EEvPT_PKS1_S4_S4_S4_fi, .Lfunc_end14-_Z28addBiasResidualPostLayerNormI6__halfLi2ELi32EEvPT_PKS1_S4_S4_S4_fi
                                        ; -- End function
	.section	.AMDGPU.csdata,"",@progbits
; Kernel info:
; codeLenInByte = 1460
; NumSgprs: 24
; NumVgprs: 19
; NumAgprs: 0
; TotalNumVgprs: 19
; ScratchSize: 0
; MemoryBound: 0
; FloatMode: 240
; IeeeMode: 1
; LDSByteSize: 136 bytes/workgroup (compile time only)
; SGPRBlocks: 2
; VGPRBlocks: 2
; NumSGPRsForWavesPerEU: 24
; NumVGPRsForWavesPerEU: 19
; AccumOffset: 20
; Occupancy: 8
; WaveLimiterHint : 0
; COMPUTE_PGM_RSRC2:SCRATCH_EN: 0
; COMPUTE_PGM_RSRC2:USER_SGPR: 6
; COMPUTE_PGM_RSRC2:TRAP_HANDLER: 0
; COMPUTE_PGM_RSRC2:TGID_X_EN: 1
; COMPUTE_PGM_RSRC2:TGID_Y_EN: 0
; COMPUTE_PGM_RSRC2:TGID_Z_EN: 0
; COMPUTE_PGM_RSRC2:TIDIG_COMP_CNT: 0
; COMPUTE_PGM_RSRC3_GFX90A:ACCUM_OFFSET: 4
; COMPUTE_PGM_RSRC3_GFX90A:TG_SPLIT: 0
	.section	.text._Z35generalAddBiasResidualPostLayerNormI6__halfLi32EEvPT_PKS1_S4_S4_S4_fi,"axG",@progbits,_Z35generalAddBiasResidualPostLayerNormI6__halfLi32EEvPT_PKS1_S4_S4_S4_fi,comdat
	.protected	_Z35generalAddBiasResidualPostLayerNormI6__halfLi32EEvPT_PKS1_S4_S4_S4_fi ; -- Begin function _Z35generalAddBiasResidualPostLayerNormI6__halfLi32EEvPT_PKS1_S4_S4_S4_fi
	.globl	_Z35generalAddBiasResidualPostLayerNormI6__halfLi32EEvPT_PKS1_S4_S4_S4_fi
	.p2align	8
	.type	_Z35generalAddBiasResidualPostLayerNormI6__halfLi32EEvPT_PKS1_S4_S4_S4_fi,@function
_Z35generalAddBiasResidualPostLayerNormI6__halfLi32EEvPT_PKS1_S4_S4_S4_fi: ; @_Z35generalAddBiasResidualPostLayerNormI6__halfLi32EEvPT_PKS1_S4_S4_S4_fi
; %bb.0:
	s_load_dwordx2 s[18:19], s[4:5], 0x28
	s_load_dwordx2 s[16:17], s[4:5], 0x0
	s_load_dwordx4 s[8:11], s[4:5], 0x18
	v_mov_b32_e32 v3, 0
	v_lshlrev_b32_e32 v2, 2, v0
	s_waitcnt lgkmcnt(0)
	s_lshr_b32 s0, s19, 31
	s_add_i32 s0, s19, s0
	s_ashr_i32 s20, s0, 1
	v_cmp_gt_i32_e64 s[0:1], s20, v0
	s_mul_i32 s21, s6, s19
	s_and_saveexec_b64 s[2:3], s[0:1]
	s_cbranch_execz .LBB15_4
; %bb.1:
	s_load_dword s6, s[4:5], 0x3c
	s_load_dwordx4 s[12:15], s[4:5], 0x8
	s_mov_b32 s24, 0
	s_lshr_b32 s22, s21, 1
	v_mov_b32_e32 v3, 0
	s_waitcnt lgkmcnt(0)
	s_and_b32 s23, s6, 0xffff
	v_mov_b32_e32 v1, s15
	v_add_co_u32_e32 v4, vcc, s14, v2
	v_addc_co_u32_e32 v5, vcc, 0, v1, vcc
	s_lshl_b32 s14, s23, 2
	s_mov_b64 s[6:7], 0
	v_mov_b32_e32 v1, s17
	v_mov_b32_e32 v6, s13
	;; [unrolled: 1-line block ×4, first 2 shown]
.LBB15_2:                               ; =>This Inner Loop Header: Depth=1
	v_add_u32_e32 v10, s22, v8
	v_ashrrev_i32_e32 v11, 31, v10
	v_lshlrev_b64 v[10:11], 2, v[10:11]
	v_add_co_u32_e32 v12, vcc, s16, v10
	v_addc_co_u32_e32 v13, vcc, v1, v11, vcc
	v_add_co_u32_e32 v10, vcc, s12, v10
	v_addc_co_u32_e32 v11, vcc, v6, v11, vcc
	global_load_dword v9, v[12:13], off
	global_load_dword v14, v[10:11], off
	;; [unrolled: 1-line block ×3, first 2 shown]
	v_add_co_u32_e32 v4, vcc, s14, v4
	v_add_u32_e32 v8, s23, v8
	v_addc_co_u32_e32 v5, vcc, v5, v7, vcc
	v_cmp_le_i32_e32 vcc, s20, v8
	s_or_b64 s[6:7], vcc, s[6:7]
	s_waitcnt vmcnt(1)
	v_pk_add_f16 v9, v9, v14
	s_waitcnt vmcnt(0)
	v_pk_add_f16 v9, v9, v15
	v_cvt_f32_f16_e32 v10, v9
	v_cvt_f32_f16_sdwa v11, v9 dst_sel:DWORD dst_unused:UNUSED_PAD src0_sel:WORD_1
	global_store_dword v[12:13], v9, off
	v_add_f32_e32 v3, v3, v10
	v_add_f32_e32 v3, v3, v11
	s_andn2_b64 exec, exec, s[6:7]
	s_cbranch_execnz .LBB15_2
; %bb.3:
	s_or_b64 exec, exec, s[6:7]
.LBB15_4:
	s_or_b64 exec, exec, s[2:3]
	v_mbcnt_lo_u32_b32 v1, -1, 0
	v_mbcnt_hi_u32_b32 v4, -1, v1
	v_and_b32_e32 v1, 0x60, v4
	v_add_u32_e32 v8, 32, v1
	v_xor_b32_e32 v1, 16, v4
	v_cmp_lt_i32_e32 vcc, v1, v8
	v_cndmask_b32_e32 v1, v4, v1, vcc
	v_lshlrev_b32_e32 v1, 2, v1
	ds_bpermute_b32 v5, v1, v3
	v_xor_b32_e32 v6, 8, v4
	v_cmp_lt_i32_e32 vcc, v6, v8
	v_xor_b32_e32 v7, 4, v4
	v_xor_b32_e32 v9, 2, v4
	s_waitcnt lgkmcnt(0)
	v_add_f32_e32 v5, v3, v5
	v_cndmask_b32_e32 v3, v4, v6, vcc
	v_lshlrev_b32_e32 v3, 2, v3
	ds_bpermute_b32 v6, v3, v5
	v_cmp_lt_i32_e32 vcc, v7, v8
	v_xor_b32_e32 v10, 1, v4
	s_waitcnt lgkmcnt(0)
	v_add_f32_e32 v5, v5, v6
	v_cndmask_b32_e32 v6, v4, v7, vcc
	v_lshlrev_b32_e32 v6, 2, v6
	ds_bpermute_b32 v7, v6, v5
	v_cmp_lt_i32_e32 vcc, v9, v8
	s_waitcnt lgkmcnt(0)
	v_add_f32_e32 v5, v5, v7
	v_cndmask_b32_e32 v7, v4, v9, vcc
	v_lshlrev_b32_e32 v7, 2, v7
	ds_bpermute_b32 v9, v7, v5
	v_cmp_lt_i32_e32 vcc, v10, v8
	v_cndmask_b32_e32 v4, v4, v10, vcc
	v_lshlrev_b32_e32 v8, 2, v4
	v_and_b32_e32 v4, 31, v0
	s_waitcnt lgkmcnt(0)
	v_add_f32_e32 v5, v5, v9
	ds_bpermute_b32 v9, v8, v5
	v_cmp_eq_u32_e64 s[2:3], 0, v4
	v_lshrrev_b32_e32 v10, 3, v0
	s_and_saveexec_b64 s[6:7], s[2:3]
	s_cbranch_execz .LBB15_6
; %bb.5:
	s_waitcnt lgkmcnt(0)
	v_add_f32_e32 v5, v5, v9
	ds_write_b32 v10, v5
.LBB15_6:
	s_or_b64 exec, exec, s[6:7]
	s_waitcnt lgkmcnt(0)
	s_barrier
	s_load_dword s14, s[4:5], 0x3c
	v_mov_b32_e32 v5, 0
	v_lshlrev_b32_e32 v11, 2, v4
	s_waitcnt lgkmcnt(0)
	s_bfe_u32 s4, s14, 0xb0005
	v_cmp_gt_u32_e64 s[4:5], s4, v0
	s_and_saveexec_b64 s[6:7], s[4:5]
	s_cbranch_execz .LBB15_8
; %bb.7:
	ds_read_b32 v5, v11
.LBB15_8:
	s_or_b64 exec, exec, s[6:7]
	s_waitcnt lgkmcnt(0)
	ds_bpermute_b32 v4, v1, v5
	v_cvt_f32_i32_e32 v9, s19
	v_cmp_eq_u32_e64 s[6:7], 0, v0
	s_waitcnt lgkmcnt(0)
	v_add_f32_e32 v4, v5, v4
	ds_bpermute_b32 v5, v3, v4
	s_waitcnt lgkmcnt(0)
	v_add_f32_e32 v4, v4, v5
	ds_bpermute_b32 v5, v6, v4
	;; [unrolled: 3-line block ×4, first 2 shown]
	s_and_saveexec_b64 s[12:13], s[6:7]
	s_cbranch_execz .LBB15_10
; %bb.9:
	s_waitcnt lgkmcnt(0)
	v_add_f32_e32 v4, v4, v5
	v_div_scale_f32 v5, s[22:23], v9, v9, v4
	v_rcp_f32_e32 v12, v5
	v_div_scale_f32 v13, vcc, v4, v9, v4
	v_fma_f32 v14, -v5, v12, 1.0
	v_fmac_f32_e32 v12, v14, v12
	v_mul_f32_e32 v14, v13, v12
	v_fma_f32 v15, -v5, v14, v13
	v_fmac_f32_e32 v14, v15, v12
	v_fma_f32 v5, -v5, v14, v13
	v_div_fmas_f32 v5, v5, v12, v14
	v_div_fixup_f32 v4, v5, v9, v4
	v_mov_b32_e32 v5, 0
	ds_write_b32 v5, v4 offset:132
.LBB15_10:
	s_or_b64 exec, exec, s[12:13]
	s_and_b32 s19, s14, 0xffff
	v_mov_b32_e32 v12, 0
	s_waitcnt lgkmcnt(0)
	s_barrier
	s_and_saveexec_b64 s[12:13], s[0:1]
	s_cbranch_execz .LBB15_14
; %bb.11:
	v_mov_b32_e32 v12, 0
	ds_read_b32 v4, v12 offset:132
	s_lshr_b32 s22, s21, 1
	s_mov_b64 s[14:15], 0
	v_mov_b32_e32 v13, s17
	v_mov_b32_e32 v14, v0
	s_waitcnt lgkmcnt(0)
	v_mov_b32_e32 v5, v4
.LBB15_12:                              ; =>This Inner Loop Header: Depth=1
	v_add_u32_e32 v16, s22, v14
	v_ashrrev_i32_e32 v17, 31, v16
	v_lshlrev_b64 v[16:17], 2, v[16:17]
	v_add_co_u32_e32 v16, vcc, s16, v16
	v_addc_co_u32_e32 v17, vcc, v13, v17, vcc
	global_load_dword v15, v[16:17], off
	v_add_u32_e32 v14, s19, v14
	v_cmp_le_i32_e32 vcc, s20, v14
	s_or_b64 s[14:15], vcc, s[14:15]
	s_waitcnt vmcnt(0)
	v_cvt_f32_f16_e32 v16, v15
	v_cvt_f32_f16_sdwa v17, v15 dst_sel:DWORD dst_unused:UNUSED_PAD src0_sel:WORD_1
	v_pk_add_f32 v[16:17], v[16:17], v[4:5] neg_lo:[0,1] neg_hi:[0,1]
	v_pk_mul_f32 v[16:17], v[16:17], v[16:17]
	v_add_f32_e32 v12, v12, v16
	v_add_f32_e32 v12, v12, v17
	s_andn2_b64 exec, exec, s[14:15]
	s_cbranch_execnz .LBB15_12
; %bb.13:
	s_or_b64 exec, exec, s[14:15]
.LBB15_14:
	s_or_b64 exec, exec, s[12:13]
	ds_bpermute_b32 v4, v1, v12
	s_waitcnt lgkmcnt(0)
	v_add_f32_e32 v4, v12, v4
	ds_bpermute_b32 v5, v3, v4
	s_waitcnt lgkmcnt(0)
	v_add_f32_e32 v4, v4, v5
	;; [unrolled: 3-line block ×4, first 2 shown]
	ds_bpermute_b32 v5, v8, v4
	s_and_saveexec_b64 s[12:13], s[2:3]
	s_cbranch_execz .LBB15_16
; %bb.15:
	s_waitcnt lgkmcnt(0)
	v_add_f32_e32 v4, v4, v5
	ds_write_b32 v10, v4
.LBB15_16:
	s_or_b64 exec, exec, s[12:13]
	v_mov_b32_e32 v4, 0
	s_waitcnt lgkmcnt(0)
	s_barrier
	s_and_saveexec_b64 s[2:3], s[4:5]
	s_cbranch_execz .LBB15_18
; %bb.17:
	ds_read_b32 v4, v11
.LBB15_18:
	s_or_b64 exec, exec, s[2:3]
	s_waitcnt lgkmcnt(0)
	ds_bpermute_b32 v1, v1, v4
	s_waitcnt lgkmcnt(0)
	v_add_f32_e32 v1, v4, v1
	ds_bpermute_b32 v3, v3, v1
	s_waitcnt lgkmcnt(0)
	v_add_f32_e32 v1, v1, v3
	;; [unrolled: 3-line block ×4, first 2 shown]
	ds_bpermute_b32 v3, v8, v1
	s_and_saveexec_b64 s[2:3], s[6:7]
	s_cbranch_execz .LBB15_20
; %bb.19:
	s_waitcnt lgkmcnt(0)
	v_add_f32_e32 v1, v1, v3
	v_div_scale_f32 v3, s[4:5], v9, v9, v1
	v_rcp_f32_e32 v4, v3
	v_div_scale_f32 v5, vcc, v1, v9, v1
	s_mov_b32 s4, 0x800000
	v_fma_f32 v6, -v3, v4, 1.0
	v_fmac_f32_e32 v4, v6, v4
	v_mul_f32_e32 v6, v5, v4
	v_fma_f32 v7, -v3, v6, v5
	v_fmac_f32_e32 v6, v7, v4
	v_fma_f32 v3, -v3, v6, v5
	v_div_fmas_f32 v3, v3, v4, v6
	v_div_fixup_f32 v1, v3, v9, v1
	v_add_f32_e32 v1, s18, v1
	v_mul_f32_e32 v3, 0x4b800000, v1
	v_cmp_gt_f32_e32 vcc, s4, v1
	v_cndmask_b32_e32 v1, v1, v3, vcc
	v_rsq_f32_e32 v1, v1
	v_mul_f32_e32 v3, 0x45800000, v1
	v_cndmask_b32_e32 v1, v1, v3, vcc
	v_mov_b32_e32 v3, 0
	ds_write_b32 v3, v1 offset:128
.LBB15_20:
	s_or_b64 exec, exec, s[2:3]
	s_waitcnt lgkmcnt(0)
	s_barrier
	s_and_saveexec_b64 s[2:3], s[0:1]
	s_cbranch_execz .LBB15_23
; %bb.21:
	v_mov_b32_e32 v1, 0
	ds_read_b64 v[4:5], v1 offset:128
	s_mov_b32 s4, 0
	s_lshr_b32 s2, s21, 1
	s_lshl_b32 s3, s19, 2
	s_mov_b64 s[0:1], 0
	s_waitcnt lgkmcnt(0)
	v_mov_b32_e32 v6, v5
	v_mov_b32_e32 v7, v5
	v_mov_b32_e32 v5, v4
	v_mov_b32_e32 v3, s17
	v_mov_b32_e32 v8, s9
	v_mov_b32_e32 v9, s11
	v_mov_b32_e32 v10, s4
.LBB15_22:                              ; =>This Inner Loop Header: Depth=1
	v_add_co_u32_e32 v14, vcc, s8, v2
	v_add_u32_e32 v12, s2, v0
	v_addc_co_u32_e32 v15, vcc, v8, v1, vcc
	v_add_co_u32_e32 v16, vcc, s10, v2
	v_ashrrev_i32_e32 v13, 31, v12
	v_addc_co_u32_e32 v17, vcc, v9, v1, vcc
	v_lshlrev_b64 v[12:13], 2, v[12:13]
	v_add_co_u32_e32 v12, vcc, s16, v12
	v_addc_co_u32_e32 v13, vcc, v3, v13, vcc
	global_load_dword v11, v[14:15], off
	global_load_dword v19, v[12:13], off
	;; [unrolled: 1-line block ×3, first 2 shown]
	v_add_co_u32_e32 v2, vcc, s3, v2
	v_add_u32_e32 v0, s19, v0
	v_addc_co_u32_e32 v1, vcc, v1, v10, vcc
	v_cmp_le_i32_e32 vcc, s20, v0
	s_or_b64 s[0:1], vcc, s[0:1]
	s_waitcnt vmcnt(2)
	v_cvt_f32_f16_e32 v14, v11
	s_waitcnt vmcnt(1)
	v_cvt_f32_f16_e32 v18, v19
	v_cvt_f32_f16_sdwa v19, v19 dst_sel:DWORD dst_unused:UNUSED_PAD src0_sel:WORD_1
	v_cvt_f32_f16_sdwa v15, v11 dst_sel:DWORD dst_unused:UNUSED_PAD src0_sel:WORD_1
	s_waitcnt vmcnt(0)
	v_cvt_f32_f16_e32 v16, v20
	v_cvt_f32_f16_sdwa v17, v20 dst_sel:DWORD dst_unused:UNUSED_PAD src0_sel:WORD_1
	v_pk_add_f32 v[18:19], v[18:19], v[6:7] neg_lo:[0,1] neg_hi:[0,1]
	v_pk_mul_f32 v[18:19], v[18:19], v[4:5]
	v_pk_fma_f32 v[14:15], v[18:19], v[14:15], v[16:17]
	v_cvt_f16_f32_e32 v11, v15
	v_cvt_f16_f32_e32 v14, v14
	v_pack_b32_f16 v11, v14, v11
	global_store_dword v[12:13], v11, off
	s_andn2_b64 exec, exec, s[0:1]
	s_cbranch_execnz .LBB15_22
.LBB15_23:
	s_endpgm
	.section	.rodata,"a",@progbits
	.p2align	6, 0x0
	.amdhsa_kernel _Z35generalAddBiasResidualPostLayerNormI6__halfLi32EEvPT_PKS1_S4_S4_S4_fi
		.amdhsa_group_segment_fixed_size 136
		.amdhsa_private_segment_fixed_size 0
		.amdhsa_kernarg_size 304
		.amdhsa_user_sgpr_count 6
		.amdhsa_user_sgpr_private_segment_buffer 1
		.amdhsa_user_sgpr_dispatch_ptr 0
		.amdhsa_user_sgpr_queue_ptr 0
		.amdhsa_user_sgpr_kernarg_segment_ptr 1
		.amdhsa_user_sgpr_dispatch_id 0
		.amdhsa_user_sgpr_flat_scratch_init 0
		.amdhsa_user_sgpr_kernarg_preload_length 0
		.amdhsa_user_sgpr_kernarg_preload_offset 0
		.amdhsa_user_sgpr_private_segment_size 0
		.amdhsa_uses_dynamic_stack 0
		.amdhsa_system_sgpr_private_segment_wavefront_offset 0
		.amdhsa_system_sgpr_workgroup_id_x 1
		.amdhsa_system_sgpr_workgroup_id_y 0
		.amdhsa_system_sgpr_workgroup_id_z 0
		.amdhsa_system_sgpr_workgroup_info 0
		.amdhsa_system_vgpr_workitem_id 0
		.amdhsa_next_free_vgpr 21
		.amdhsa_next_free_sgpr 25
		.amdhsa_accum_offset 24
		.amdhsa_reserve_vcc 1
		.amdhsa_reserve_flat_scratch 0
		.amdhsa_float_round_mode_32 0
		.amdhsa_float_round_mode_16_64 0
		.amdhsa_float_denorm_mode_32 3
		.amdhsa_float_denorm_mode_16_64 3
		.amdhsa_dx10_clamp 1
		.amdhsa_ieee_mode 1
		.amdhsa_fp16_overflow 0
		.amdhsa_tg_split 0
		.amdhsa_exception_fp_ieee_invalid_op 0
		.amdhsa_exception_fp_denorm_src 0
		.amdhsa_exception_fp_ieee_div_zero 0
		.amdhsa_exception_fp_ieee_overflow 0
		.amdhsa_exception_fp_ieee_underflow 0
		.amdhsa_exception_fp_ieee_inexact 0
		.amdhsa_exception_int_div_zero 0
	.end_amdhsa_kernel
	.section	.text._Z35generalAddBiasResidualPostLayerNormI6__halfLi32EEvPT_PKS1_S4_S4_S4_fi,"axG",@progbits,_Z35generalAddBiasResidualPostLayerNormI6__halfLi32EEvPT_PKS1_S4_S4_S4_fi,comdat
.Lfunc_end15:
	.size	_Z35generalAddBiasResidualPostLayerNormI6__halfLi32EEvPT_PKS1_S4_S4_S4_fi, .Lfunc_end15-_Z35generalAddBiasResidualPostLayerNormI6__halfLi32EEvPT_PKS1_S4_S4_S4_fi
                                        ; -- End function
	.section	.AMDGPU.csdata,"",@progbits
; Kernel info:
; codeLenInByte = 1556
; NumSgprs: 29
; NumVgprs: 21
; NumAgprs: 0
; TotalNumVgprs: 21
; ScratchSize: 0
; MemoryBound: 0
; FloatMode: 240
; IeeeMode: 1
; LDSByteSize: 136 bytes/workgroup (compile time only)
; SGPRBlocks: 3
; VGPRBlocks: 2
; NumSGPRsForWavesPerEU: 29
; NumVGPRsForWavesPerEU: 21
; AccumOffset: 24
; Occupancy: 8
; WaveLimiterHint : 0
; COMPUTE_PGM_RSRC2:SCRATCH_EN: 0
; COMPUTE_PGM_RSRC2:USER_SGPR: 6
; COMPUTE_PGM_RSRC2:TRAP_HANDLER: 0
; COMPUTE_PGM_RSRC2:TGID_X_EN: 1
; COMPUTE_PGM_RSRC2:TGID_Y_EN: 0
; COMPUTE_PGM_RSRC2:TGID_Z_EN: 0
; COMPUTE_PGM_RSRC2:TIDIG_COMP_CNT: 0
; COMPUTE_PGM_RSRC3_GFX90A:ACCUM_OFFSET: 5
; COMPUTE_PGM_RSRC3_GFX90A:TG_SPLIT: 0
	.section	.text._Z30addBiasResidualPostLayerNormV2I14__hip_bfloat16Li64EEvPT_PKS1_S4_S4_S4_fi,"axG",@progbits,_Z30addBiasResidualPostLayerNormV2I14__hip_bfloat16Li64EEvPT_PKS1_S4_S4_S4_fi,comdat
	.protected	_Z30addBiasResidualPostLayerNormV2I14__hip_bfloat16Li64EEvPT_PKS1_S4_S4_S4_fi ; -- Begin function _Z30addBiasResidualPostLayerNormV2I14__hip_bfloat16Li64EEvPT_PKS1_S4_S4_S4_fi
	.globl	_Z30addBiasResidualPostLayerNormV2I14__hip_bfloat16Li64EEvPT_PKS1_S4_S4_S4_fi
	.p2align	8
	.type	_Z30addBiasResidualPostLayerNormV2I14__hip_bfloat16Li64EEvPT_PKS1_S4_S4_S4_fi,@function
_Z30addBiasResidualPostLayerNormV2I14__hip_bfloat16Li64EEvPT_PKS1_S4_S4_S4_fi: ; @_Z30addBiasResidualPostLayerNormV2I14__hip_bfloat16Li64EEvPT_PKS1_S4_S4_S4_fi
; %bb.0:
	s_load_dwordx2 s[8:9], s[4:5], 0x28
	s_load_dwordx4 s[0:3], s[4:5], 0x0
	s_load_dwordx2 s[10:11], s[4:5], 0x10
	s_waitcnt lgkmcnt(0)
	s_mul_i32 s6, s6, s9
	s_lshr_b32 s7, s6, 31
	s_add_i32 s6, s6, s7
	s_ashr_i32 s6, s6, 1
	v_add_u32_e32 v4, s6, v0
	v_ashrrev_i32_e32 v5, 31, v4
	v_lshlrev_b64 v[6:7], 2, v[4:5]
	v_mov_b32_e32 v1, s1
	v_add_co_u32_e32 v2, vcc, s0, v6
	v_addc_co_u32_e32 v3, vcc, v1, v7, vcc
	v_mov_b32_e32 v1, s3
	v_add_co_u32_e32 v6, vcc, s2, v6
	v_addc_co_u32_e32 v7, vcc, v1, v7, vcc
	global_load_dword v10, v[6:7], off
	global_load_dword v9, v[2:3], off
	v_lshlrev_b32_e32 v1, 2, v0
	global_load_dword v5, v1, s[10:11]
	s_mov_b32 s6, 0x7f800000
	s_waitcnt vmcnt(2)
	v_lshlrev_b32_e32 v6, 16, v10
	s_waitcnt vmcnt(1)
	v_lshlrev_b32_e32 v8, 16, v9
	v_pk_add_f32 v[6:7], v[6:7], v[8:9] op_sel_hi:[0,1]
	v_and_b32_e32 v7, 0x7f800000, v6
	v_cmp_ne_u32_e32 vcc, s6, v7
                                        ; implicit-def: $vgpr8
	s_and_saveexec_b64 s[6:7], vcc
	s_xor_b64 s[6:7], exec, s[6:7]
; %bb.1:
	v_bfe_u32 v7, v6, 16, 1
	s_movk_i32 s12, 0x7fff
	v_add3_u32 v8, v6, v7, s12
                                        ; implicit-def: $vgpr6_vgpr7
; %bb.2:
	s_andn2_saveexec_b64 s[6:7], s[6:7]
; %bb.3:
	v_mov_b32_e32 v7, 0
	v_or_b32_e32 v8, 0x10000, v6
	v_cmp_eq_u32_sdwa vcc, v6, v7 src0_sel:WORD_0 src1_sel:DWORD
	v_cndmask_b32_e32 v8, v8, v6, vcc
; %bb.4:
	s_or_b64 exec, exec, s[6:7]
	v_and_b32_e32 v6, 0xffff0000, v10
	v_and_b32_e32 v10, 0xffff0000, v9
	v_pk_add_f32 v[6:7], v[6:7], v[10:11] op_sel_hi:[0,1]
	s_mov_b32 s6, 0x7f800000
	v_and_b32_e32 v7, 0x7f800000, v6
	v_cmp_ne_u32_e32 vcc, s6, v7
                                        ; implicit-def: $vgpr9
	s_and_saveexec_b64 s[6:7], vcc
	s_xor_b64 s[6:7], exec, s[6:7]
; %bb.5:
	v_bfe_u32 v7, v6, 16, 1
	s_movk_i32 s12, 0x7fff
	v_add3_u32 v9, v6, v7, s12
                                        ; implicit-def: $vgpr6_vgpr7
; %bb.6:
	s_andn2_saveexec_b64 s[6:7], s[6:7]
; %bb.7:
	v_mov_b32_e32 v7, 0
	v_or_b32_e32 v9, 0x10000, v6
	v_cmp_eq_u32_sdwa vcc, v6, v7 src0_sel:WORD_0 src1_sel:DWORD
	v_cndmask_b32_e32 v9, v9, v6, vcc
; %bb.8:
	s_or_b64 exec, exec, s[6:7]
	v_and_b32_e32 v6, 0xffff0000, v8
	s_waitcnt vmcnt(0)
	v_lshlrev_b32_e32 v7, 16, v5
	v_add_f32_e32 v7, v7, v6
	s_mov_b32 s6, 0x7f800000
	v_and_b32_e32 v6, 0x7f800000, v7
	v_cmp_ne_u32_e32 vcc, s6, v6
                                        ; implicit-def: $vgpr6
	s_and_saveexec_b64 s[6:7], vcc
	s_xor_b64 s[6:7], exec, s[6:7]
; %bb.9:
	v_bfe_u32 v6, v7, 16, 1
	s_movk_i32 s12, 0x7fff
	v_add3_u32 v6, v7, v6, s12
                                        ; implicit-def: $vgpr7
; %bb.10:
	s_andn2_saveexec_b64 s[6:7], s[6:7]
; %bb.11:
	v_mov_b32_e32 v6, 0
	v_or_b32_e32 v8, 0x10000, v7
	v_cmp_eq_u32_sdwa vcc, v7, v6 src0_sel:WORD_0 src1_sel:DWORD
	v_cndmask_b32_e32 v6, v8, v7, vcc
; %bb.12:
	s_or_b64 exec, exec, s[6:7]
	v_and_b32_e32 v7, 0xffff0000, v9
	v_and_b32_e32 v5, 0xffff0000, v5
	v_add_f32_e32 v7, v5, v7
	s_mov_b32 s6, 0x7f800000
	v_and_b32_e32 v5, 0x7f800000, v7
	v_cmp_ne_u32_e32 vcc, s6, v5
                                        ; implicit-def: $vgpr5
	s_and_saveexec_b64 s[6:7], vcc
	s_xor_b64 s[6:7], exec, s[6:7]
; %bb.13:
	v_bfe_u32 v5, v7, 16, 1
	s_movk_i32 s12, 0x7fff
	v_add3_u32 v5, v7, v5, s12
                                        ; implicit-def: $vgpr7
; %bb.14:
	s_andn2_saveexec_b64 s[6:7], s[6:7]
; %bb.15:
	v_mov_b32_e32 v5, 0
	v_or_b32_e32 v8, 0x10000, v7
	v_cmp_eq_u32_sdwa vcc, v7, v5 src0_sel:WORD_0 src1_sel:DWORD
	v_cndmask_b32_e32 v5, v8, v7, vcc
; %bb.16:
	s_or_b64 exec, exec, s[6:7]
	v_and_b32_e32 v14, 0xffff0000, v6
	v_add_f32_e32 v6, 0, v14
	s_mov_b32 s6, 0x7f800000
	v_and_b32_e32 v7, 0x7f800000, v6
	v_cmp_ne_u32_e32 vcc, s6, v7
                                        ; implicit-def: $vgpr12
	s_and_saveexec_b64 s[6:7], vcc
	s_xor_b64 s[6:7], exec, s[6:7]
; %bb.17:
	v_bfe_u32 v7, v6, 16, 1
	s_movk_i32 s12, 0x7fff
	v_add3_u32 v12, v6, v7, s12
                                        ; implicit-def: $vgpr6
; %bb.18:
	s_or_saveexec_b64 s[6:7], s[6:7]
	v_mov_b32_e32 v7, s11
	s_xor_b64 exec, exec, s[6:7]
; %bb.19:
	v_mov_b32_e32 v8, 0
	v_or_b32_e32 v9, 0x10000, v6
	v_cmp_eq_u32_sdwa vcc, v6, v8 src0_sel:WORD_0 src1_sel:DWORD
	v_cndmask_b32_e32 v12, v9, v6, vcc
; %bb.20:
	s_or_b64 exec, exec, s[6:7]
	v_and_b32_e32 v15, 0xffff0000, v5
	v_add_co_u32_e32 v8, vcc, s10, v1
	v_add_f32_e32 v5, 0, v15
	v_addc_co_u32_e32 v9, vcc, 0, v7, vcc
	s_mov_b32 s6, 0x7f800000
	v_and_b32_e32 v6, 0x7f800000, v5
	v_cmp_ne_u32_e32 vcc, s6, v6
                                        ; implicit-def: $vgpr13
	s_and_saveexec_b64 s[6:7], vcc
	s_xor_b64 s[6:7], exec, s[6:7]
; %bb.21:
	v_bfe_u32 v6, v5, 16, 1
	s_movk_i32 s10, 0x7fff
	v_add3_u32 v13, v5, v6, s10
                                        ; implicit-def: $vgpr5
; %bb.22:
	s_or_saveexec_b64 s[6:7], s[6:7]
	s_load_dword s10, s[4:5], 0x3c
	s_xor_b64 exec, exec, s[6:7]
; %bb.23:
	v_mov_b32_e32 v6, 0
	v_or_b32_e32 v7, 0x10000, v5
	v_cmp_eq_u32_sdwa vcc, v5, v6 src0_sel:WORD_0 src1_sel:DWORD
	v_cndmask_b32_e32 v13, v7, v5, vcc
; %bb.24:
	s_or_b64 exec, exec, s[6:7]
	s_waitcnt lgkmcnt(0)
	s_and_b32 s10, 0xffff, s10
	v_add_u32_e32 v6, s10, v4
	v_ashrrev_i32_e32 v7, 31, v6
	v_lshlrev_b64 v[10:11], 2, v[6:7]
	v_mov_b32_e32 v5, s1
	v_add_co_u32_e32 v4, vcc, s0, v10
	v_addc_co_u32_e32 v5, vcc, v5, v11, vcc
	v_mov_b32_e32 v7, s3
	v_add_co_u32_e32 v10, vcc, s2, v10
	v_addc_co_u32_e32 v11, vcc, v7, v11, vcc
	global_load_dword v17, v[4:5], off
	global_load_dword v18, v[10:11], off
	s_lshl_b32 s6, s10, 2
	v_add_co_u32_e32 v8, vcc, s6, v8
	v_addc_co_u32_e32 v9, vcc, 0, v9, vcc
	global_load_dword v7, v[8:9], off
	s_mov_b32 s6, 0x7f800000
	s_waitcnt vmcnt(2)
	v_lshlrev_b32_e32 v16, 16, v17
	s_waitcnt vmcnt(1)
	v_lshlrev_b32_e32 v10, 16, v18
	v_pk_add_f32 v[10:11], v[10:11], v[16:17] op_sel_hi:[0,1]
	v_and_b32_e32 v11, 0x7f800000, v10
	v_cmp_ne_u32_e32 vcc, s6, v11
                                        ; implicit-def: $vgpr16
	s_and_saveexec_b64 s[6:7], vcc
	s_xor_b64 s[6:7], exec, s[6:7]
; %bb.25:
	v_bfe_u32 v11, v10, 16, 1
	s_movk_i32 s11, 0x7fff
	v_add3_u32 v16, v10, v11, s11
                                        ; implicit-def: $vgpr10_vgpr11
; %bb.26:
	s_andn2_saveexec_b64 s[6:7], s[6:7]
; %bb.27:
	v_mov_b32_e32 v11, 0
	v_or_b32_e32 v16, 0x10000, v10
	v_cmp_eq_u32_sdwa vcc, v10, v11 src0_sel:WORD_0 src1_sel:DWORD
	v_cndmask_b32_e32 v16, v16, v10, vcc
; %bb.28:
	s_or_b64 exec, exec, s[6:7]
	v_and_b32_e32 v10, 0xffff0000, v18
	v_and_b32_e32 v18, 0xffff0000, v17
	v_pk_add_f32 v[10:11], v[10:11], v[18:19] op_sel_hi:[0,1]
	s_mov_b32 s6, 0x7f800000
	v_and_b32_e32 v11, 0x7f800000, v10
	v_cmp_ne_u32_e32 vcc, s6, v11
                                        ; implicit-def: $vgpr17
	s_and_saveexec_b64 s[6:7], vcc
	s_xor_b64 s[6:7], exec, s[6:7]
; %bb.29:
	v_bfe_u32 v11, v10, 16, 1
	s_movk_i32 s11, 0x7fff
	v_add3_u32 v17, v10, v11, s11
                                        ; implicit-def: $vgpr10_vgpr11
; %bb.30:
	s_andn2_saveexec_b64 s[6:7], s[6:7]
; %bb.31:
	v_mov_b32_e32 v11, 0
	v_or_b32_e32 v17, 0x10000, v10
	v_cmp_eq_u32_sdwa vcc, v10, v11 src0_sel:WORD_0 src1_sel:DWORD
	v_cndmask_b32_e32 v17, v17, v10, vcc
; %bb.32:
	s_or_b64 exec, exec, s[6:7]
	v_and_b32_e32 v10, 0xffff0000, v16
	s_waitcnt vmcnt(0)
	v_lshlrev_b32_e32 v11, 16, v7
	v_add_f32_e32 v11, v11, v10
	s_mov_b32 s6, 0x7f800000
	v_and_b32_e32 v10, 0x7f800000, v11
	v_cmp_ne_u32_e32 vcc, s6, v10
                                        ; implicit-def: $vgpr10
	s_and_saveexec_b64 s[6:7], vcc
	s_xor_b64 s[6:7], exec, s[6:7]
; %bb.33:
	v_bfe_u32 v10, v11, 16, 1
	s_movk_i32 s11, 0x7fff
	v_add3_u32 v10, v11, v10, s11
                                        ; implicit-def: $vgpr11
; %bb.34:
	s_andn2_saveexec_b64 s[6:7], s[6:7]
; %bb.35:
	v_mov_b32_e32 v10, 0
	v_or_b32_e32 v16, 0x10000, v11
	v_cmp_eq_u32_sdwa vcc, v11, v10 src0_sel:WORD_0 src1_sel:DWORD
	v_cndmask_b32_e32 v10, v16, v11, vcc
; %bb.36:
	s_or_b64 exec, exec, s[6:7]
	v_and_b32_e32 v11, 0xffff0000, v17
	v_and_b32_e32 v7, 0xffff0000, v7
	v_add_f32_e32 v11, v7, v11
	s_mov_b32 s6, 0x7f800000
	v_and_b32_e32 v7, 0x7f800000, v11
	v_cmp_ne_u32_e32 vcc, s6, v7
                                        ; implicit-def: $vgpr7
	s_and_saveexec_b64 s[6:7], vcc
	s_xor_b64 s[6:7], exec, s[6:7]
; %bb.37:
	v_bfe_u32 v7, v11, 16, 1
	s_movk_i32 s11, 0x7fff
	v_add3_u32 v7, v11, v7, s11
                                        ; implicit-def: $vgpr11
; %bb.38:
	s_andn2_saveexec_b64 s[6:7], s[6:7]
; %bb.39:
	v_mov_b32_e32 v7, 0
	v_or_b32_e32 v16, 0x10000, v11
	v_cmp_eq_u32_sdwa vcc, v11, v7 src0_sel:WORD_0 src1_sel:DWORD
	v_cndmask_b32_e32 v7, v16, v11, vcc
; %bb.40:
	s_or_b64 exec, exec, s[6:7]
	v_and_b32_e32 v11, 0xffff0000, v12
	v_and_b32_e32 v16, 0xffff0000, v10
	v_add_f32_e32 v10, v11, v16
	s_mov_b32 s6, 0x7f800000
	v_and_b32_e32 v11, 0x7f800000, v10
	v_cmp_ne_u32_e32 vcc, s6, v11
                                        ; implicit-def: $vgpr18
	s_and_saveexec_b64 s[6:7], vcc
	s_xor_b64 s[6:7], exec, s[6:7]
; %bb.41:
	v_bfe_u32 v11, v10, 16, 1
	s_movk_i32 s11, 0x7fff
	v_add3_u32 v18, v10, v11, s11
                                        ; implicit-def: $vgpr10
; %bb.42:
	s_andn2_saveexec_b64 s[6:7], s[6:7]
; %bb.43:
	v_mov_b32_e32 v11, 0
	v_or_b32_e32 v12, 0x10000, v10
	v_cmp_eq_u32_sdwa vcc, v10, v11 src0_sel:WORD_0 src1_sel:DWORD
	v_cndmask_b32_e32 v18, v12, v10, vcc
; %bb.44:
	s_or_b64 exec, exec, s[6:7]
	v_and_b32_e32 v17, 0xffff0000, v7
	v_and_b32_e32 v7, 0xffff0000, v13
	v_add_f32_e32 v7, v7, v17
	s_mov_b32 s6, 0x7f800000
	v_and_b32_e32 v10, 0x7f800000, v7
	v_cmp_ne_u32_e32 vcc, s6, v10
                                        ; implicit-def: $vgpr19
	s_and_saveexec_b64 s[6:7], vcc
	s_xor_b64 s[6:7], exec, s[6:7]
; %bb.45:
	v_bfe_u32 v10, v7, 16, 1
	s_movk_i32 s11, 0x7fff
	v_add3_u32 v19, v7, v10, s11
                                        ; implicit-def: $vgpr7
; %bb.46:
	s_andn2_saveexec_b64 s[6:7], s[6:7]
; %bb.47:
	v_mov_b32_e32 v10, 0
	v_or_b32_e32 v11, 0x10000, v7
	v_cmp_eq_u32_sdwa vcc, v7, v10 src0_sel:WORD_0 src1_sel:DWORD
	v_cndmask_b32_e32 v19, v11, v7, vcc
; %bb.48:
	s_or_b64 exec, exec, s[6:7]
	v_add_u32_e32 v12, s10, v6
	v_ashrrev_i32_e32 v13, 31, v12
	v_lshlrev_b64 v[10:11], 2, v[12:13]
	v_mov_b32_e32 v7, s1
	v_add_co_u32_e32 v6, vcc, s0, v10
	v_addc_co_u32_e32 v7, vcc, v7, v11, vcc
	v_mov_b32_e32 v13, s3
	v_add_co_u32_e32 v10, vcc, s2, v10
	v_addc_co_u32_e32 v11, vcc, v13, v11, vcc
	global_load_dword v21, v[6:7], off
	global_load_dword v22, v[10:11], off
	s_lshl_b32 s14, s10, 2
	v_add_co_u32_e32 v10, vcc, s14, v8
	v_addc_co_u32_e32 v11, vcc, 0, v9, vcc
	global_load_dword v13, v[10:11], off
	s_mov_b32 s6, 0x7f800000
	s_waitcnt vmcnt(2)
	v_lshlrev_b32_e32 v20, 16, v21
	s_waitcnt vmcnt(1)
	v_lshlrev_b32_e32 v8, 16, v22
	v_pk_add_f32 v[8:9], v[8:9], v[20:21] op_sel_hi:[0,1]
	v_and_b32_e32 v9, 0x7f800000, v8
	v_cmp_ne_u32_e32 vcc, s6, v9
                                        ; implicit-def: $vgpr20
	s_and_saveexec_b64 s[6:7], vcc
	s_xor_b64 s[6:7], exec, s[6:7]
; %bb.49:
	v_bfe_u32 v9, v8, 16, 1
	s_movk_i32 s11, 0x7fff
	v_add3_u32 v20, v8, v9, s11
                                        ; implicit-def: $vgpr8_vgpr9
; %bb.50:
	s_andn2_saveexec_b64 s[6:7], s[6:7]
; %bb.51:
	v_mov_b32_e32 v9, 0
	v_or_b32_e32 v20, 0x10000, v8
	v_cmp_eq_u32_sdwa vcc, v8, v9 src0_sel:WORD_0 src1_sel:DWORD
	v_cndmask_b32_e32 v20, v20, v8, vcc
; %bb.52:
	s_or_b64 exec, exec, s[6:7]
	v_and_b32_e32 v8, 0xffff0000, v22
	v_and_b32_e32 v22, 0xffff0000, v21
	v_pk_add_f32 v[8:9], v[8:9], v[22:23] op_sel_hi:[0,1]
	s_mov_b32 s6, 0x7f800000
	v_and_b32_e32 v9, 0x7f800000, v8
	v_cmp_ne_u32_e32 vcc, s6, v9
                                        ; implicit-def: $vgpr21
	s_and_saveexec_b64 s[6:7], vcc
	s_xor_b64 s[6:7], exec, s[6:7]
; %bb.53:
	v_bfe_u32 v9, v8, 16, 1
	s_movk_i32 s11, 0x7fff
	v_add3_u32 v21, v8, v9, s11
                                        ; implicit-def: $vgpr8_vgpr9
; %bb.54:
	s_andn2_saveexec_b64 s[6:7], s[6:7]
; %bb.55:
	v_mov_b32_e32 v9, 0
	v_or_b32_e32 v21, 0x10000, v8
	v_cmp_eq_u32_sdwa vcc, v8, v9 src0_sel:WORD_0 src1_sel:DWORD
	v_cndmask_b32_e32 v21, v21, v8, vcc
; %bb.56:
	s_or_b64 exec, exec, s[6:7]
	v_and_b32_e32 v8, 0xffff0000, v20
	s_waitcnt vmcnt(0)
	v_lshlrev_b32_e32 v9, 16, v13
	v_add_f32_e32 v9, v9, v8
	s_mov_b32 s6, 0x7f800000
	v_and_b32_e32 v8, 0x7f800000, v9
	v_cmp_ne_u32_e32 vcc, s6, v8
                                        ; implicit-def: $vgpr8
	s_and_saveexec_b64 s[6:7], vcc
	s_xor_b64 s[6:7], exec, s[6:7]
; %bb.57:
	v_bfe_u32 v8, v9, 16, 1
	s_movk_i32 s11, 0x7fff
	v_add3_u32 v8, v9, v8, s11
                                        ; implicit-def: $vgpr9
; %bb.58:
	s_andn2_saveexec_b64 s[6:7], s[6:7]
; %bb.59:
	v_mov_b32_e32 v8, 0
	v_or_b32_e32 v20, 0x10000, v9
	v_cmp_eq_u32_sdwa vcc, v9, v8 src0_sel:WORD_0 src1_sel:DWORD
	v_cndmask_b32_e32 v8, v20, v9, vcc
; %bb.60:
	s_or_b64 exec, exec, s[6:7]
	v_and_b32_e32 v9, 0xffff0000, v21
	v_and_b32_e32 v13, 0xffff0000, v13
	v_add_f32_e32 v13, v13, v9
	s_mov_b32 s6, 0x7f800000
	v_and_b32_e32 v9, 0x7f800000, v13
	v_cmp_ne_u32_e32 vcc, s6, v9
                                        ; implicit-def: $vgpr9
	s_and_saveexec_b64 s[6:7], vcc
	s_xor_b64 s[6:7], exec, s[6:7]
; %bb.61:
	v_bfe_u32 v9, v13, 16, 1
	s_movk_i32 s11, 0x7fff
	v_add3_u32 v9, v13, v9, s11
                                        ; implicit-def: $vgpr13
; %bb.62:
	s_andn2_saveexec_b64 s[6:7], s[6:7]
; %bb.63:
	v_mov_b32_e32 v9, 0
	v_or_b32_e32 v20, 0x10000, v13
	v_cmp_eq_u32_sdwa vcc, v13, v9 src0_sel:WORD_0 src1_sel:DWORD
	v_cndmask_b32_e32 v9, v20, v13, vcc
; %bb.64:
	s_or_b64 exec, exec, s[6:7]
	v_and_b32_e32 v18, 0xffff0000, v18
	v_and_b32_e32 v13, 0xffff0000, v8
	v_add_f32_e32 v8, v18, v13
	s_mov_b32 s6, 0x7f800000
	v_and_b32_e32 v18, 0x7f800000, v8
	v_cmp_ne_u32_e32 vcc, s6, v18
                                        ; implicit-def: $vgpr21
	s_and_saveexec_b64 s[6:7], vcc
	s_xor_b64 s[6:7], exec, s[6:7]
; %bb.65:
	v_bfe_u32 v18, v8, 16, 1
	s_movk_i32 s11, 0x7fff
	v_add3_u32 v21, v8, v18, s11
                                        ; implicit-def: $vgpr8
; %bb.66:
	s_andn2_saveexec_b64 s[6:7], s[6:7]
; %bb.67:
	v_mov_b32_e32 v18, 0
	v_or_b32_e32 v20, 0x10000, v8
	v_cmp_eq_u32_sdwa vcc, v8, v18 src0_sel:WORD_0 src1_sel:DWORD
	v_cndmask_b32_e32 v21, v20, v8, vcc
; %bb.68:
	s_or_b64 exec, exec, s[6:7]
	v_and_b32_e32 v18, 0xffff0000, v9
	v_and_b32_e32 v8, 0xffff0000, v19
	v_add_f32_e32 v8, v8, v18
	s_mov_b32 s6, 0x7f800000
	v_and_b32_e32 v9, 0x7f800000, v8
	v_cmp_ne_u32_e32 vcc, s6, v9
                                        ; implicit-def: $vgpr20
	s_and_saveexec_b64 s[6:7], vcc
	s_xor_b64 s[6:7], exec, s[6:7]
; %bb.69:
	v_bfe_u32 v9, v8, 16, 1
	s_movk_i32 s11, 0x7fff
	v_add3_u32 v20, v8, v9, s11
                                        ; implicit-def: $vgpr8
; %bb.70:
	s_andn2_saveexec_b64 s[6:7], s[6:7]
; %bb.71:
	v_mov_b32_e32 v9, 0
	v_or_b32_e32 v19, 0x10000, v8
	v_cmp_eq_u32_sdwa vcc, v8, v9 src0_sel:WORD_0 src1_sel:DWORD
	v_cndmask_b32_e32 v20, v19, v8, vcc
; %bb.72:
	s_or_b64 exec, exec, s[6:7]
	v_add_u32_e32 v8, s10, v12
	v_ashrrev_i32_e32 v9, 31, v8
	v_lshlrev_b64 v[22:23], 2, v[8:9]
	v_mov_b32_e32 v9, s1
	v_add_co_u32_e32 v8, vcc, s0, v22
	v_addc_co_u32_e32 v9, vcc, v9, v23, vcc
	v_mov_b32_e32 v12, s3
	v_add_co_u32_e32 v24, vcc, s2, v22
	v_addc_co_u32_e32 v25, vcc, v12, v23, vcc
	global_load_dword v23, v[24:25], off
	global_load_dword v22, v[8:9], off
	v_add_co_u32_e32 v10, vcc, s14, v10
	v_addc_co_u32_e32 v11, vcc, 0, v11, vcc
	global_load_dword v12, v[10:11], off
	s_mov_b32 s0, 0x7f800000
                                        ; implicit-def: $vgpr19
	s_waitcnt vmcnt(2)
	v_lshlrev_b32_e32 v10, 16, v23
	s_waitcnt vmcnt(1)
	v_lshlrev_b32_e32 v24, 16, v22
	v_pk_add_f32 v[10:11], v[10:11], v[24:25] op_sel_hi:[0,1]
	v_and_b32_e32 v11, 0x7f800000, v10
	v_cmp_ne_u32_e32 vcc, s0, v11
	s_and_saveexec_b64 s[0:1], vcc
	s_xor_b64 s[0:1], exec, s[0:1]
; %bb.73:
	v_bfe_u32 v11, v10, 16, 1
	s_movk_i32 s2, 0x7fff
	v_add3_u32 v19, v10, v11, s2
                                        ; implicit-def: $vgpr10_vgpr11
; %bb.74:
	s_andn2_saveexec_b64 s[0:1], s[0:1]
; %bb.75:
	v_mov_b32_e32 v11, 0
	v_or_b32_e32 v19, 0x10000, v10
	v_cmp_eq_u32_sdwa vcc, v10, v11 src0_sel:WORD_0 src1_sel:DWORD
	v_cndmask_b32_e32 v19, v19, v10, vcc
; %bb.76:
	s_or_b64 exec, exec, s[0:1]
	v_and_b32_e32 v10, 0xffff0000, v23
	v_and_b32_e32 v22, 0xffff0000, v22
	v_pk_add_f32 v[10:11], v[10:11], v[22:23] op_sel_hi:[0,1]
	s_mov_b32 s0, 0x7f800000
	v_and_b32_e32 v11, 0x7f800000, v10
	v_cmp_ne_u32_e32 vcc, s0, v11
                                        ; implicit-def: $vgpr22
	s_and_saveexec_b64 s[0:1], vcc
	s_xor_b64 s[0:1], exec, s[0:1]
; %bb.77:
	v_bfe_u32 v11, v10, 16, 1
	s_movk_i32 s2, 0x7fff
	v_add3_u32 v22, v10, v11, s2
                                        ; implicit-def: $vgpr10_vgpr11
; %bb.78:
	s_andn2_saveexec_b64 s[0:1], s[0:1]
; %bb.79:
	v_mov_b32_e32 v11, 0
	v_or_b32_e32 v22, 0x10000, v10
	v_cmp_eq_u32_sdwa vcc, v10, v11 src0_sel:WORD_0 src1_sel:DWORD
	v_cndmask_b32_e32 v22, v22, v10, vcc
; %bb.80:
	s_or_b64 exec, exec, s[0:1]
	v_and_b32_e32 v10, 0xffff0000, v19
	s_waitcnt vmcnt(0)
	v_lshlrev_b32_e32 v11, 16, v12
	v_add_f32_e32 v11, v11, v10
	s_mov_b32 s0, 0x7f800000
	v_and_b32_e32 v10, 0x7f800000, v11
	v_cmp_ne_u32_e32 vcc, s0, v10
                                        ; implicit-def: $vgpr10
	s_and_saveexec_b64 s[0:1], vcc
	s_xor_b64 s[0:1], exec, s[0:1]
; %bb.81:
	v_bfe_u32 v10, v11, 16, 1
	s_movk_i32 s2, 0x7fff
	v_add3_u32 v10, v11, v10, s2
                                        ; implicit-def: $vgpr11
; %bb.82:
	s_andn2_saveexec_b64 s[0:1], s[0:1]
; %bb.83:
	v_mov_b32_e32 v10, 0
	v_or_b32_e32 v19, 0x10000, v11
	v_cmp_eq_u32_sdwa vcc, v11, v10 src0_sel:WORD_0 src1_sel:DWORD
	v_cndmask_b32_e32 v10, v19, v11, vcc
; %bb.84:
	s_or_b64 exec, exec, s[0:1]
	v_and_b32_e32 v11, 0xffff0000, v22
	v_and_b32_e32 v12, 0xffff0000, v12
	v_add_f32_e32 v12, v12, v11
	s_mov_b32 s0, 0x7f800000
	v_and_b32_e32 v11, 0x7f800000, v12
	v_cmp_ne_u32_e32 vcc, s0, v11
                                        ; implicit-def: $vgpr11
	s_and_saveexec_b64 s[0:1], vcc
	s_xor_b64 s[0:1], exec, s[0:1]
; %bb.85:
	v_bfe_u32 v11, v12, 16, 1
	s_movk_i32 s2, 0x7fff
	v_add3_u32 v11, v12, v11, s2
                                        ; implicit-def: $vgpr12
; %bb.86:
	s_andn2_saveexec_b64 s[0:1], s[0:1]
; %bb.87:
	v_mov_b32_e32 v11, 0
	v_or_b32_e32 v19, 0x10000, v12
	v_cmp_eq_u32_sdwa vcc, v12, v11 src0_sel:WORD_0 src1_sel:DWORD
	v_cndmask_b32_e32 v11, v19, v12, vcc
; %bb.88:
	s_or_b64 exec, exec, s[0:1]
	v_and_b32_e32 v19, 0xffff0000, v21
	v_and_b32_e32 v12, 0xffff0000, v10
	v_add_f32_e32 v19, v19, v12
	s_mov_b32 s0, 0x7f800000
	v_and_b32_e32 v10, 0x7f800000, v19
	v_cmp_ne_u32_e32 vcc, s0, v10
                                        ; implicit-def: $vgpr10
	s_and_saveexec_b64 s[0:1], vcc
	s_xor_b64 s[0:1], exec, s[0:1]
; %bb.89:
	v_bfe_u32 v10, v19, 16, 1
	s_movk_i32 s2, 0x7fff
	v_add3_u32 v10, v19, v10, s2
                                        ; implicit-def: $vgpr19
; %bb.90:
	s_andn2_saveexec_b64 s[0:1], s[0:1]
; %bb.91:
	v_mov_b32_e32 v10, 0
	v_or_b32_e32 v21, 0x10000, v19
	v_cmp_eq_u32_sdwa vcc, v19, v10 src0_sel:WORD_0 src1_sel:DWORD
	v_cndmask_b32_e32 v10, v21, v19, vcc
; %bb.92:
	s_or_b64 exec, exec, s[0:1]
	v_and_b32_e32 v19, 0xffff0000, v11
	v_and_b32_e32 v11, 0xffff0000, v20
	v_add_f32_e32 v11, v11, v19
	s_mov_b32 s0, 0x7f800000
	v_and_b32_e32 v20, 0x7f800000, v11
	v_cmp_ne_u32_e32 vcc, s0, v20
                                        ; implicit-def: $vgpr20
	s_and_saveexec_b64 s[0:1], vcc
	s_xor_b64 s[0:1], exec, s[0:1]
; %bb.93:
	v_bfe_u32 v20, v11, 16, 1
	s_movk_i32 s2, 0x7fff
	v_add3_u32 v20, v11, v20, s2
                                        ; implicit-def: $vgpr11
; %bb.94:
	s_andn2_saveexec_b64 s[0:1], s[0:1]
; %bb.95:
	v_mov_b32_e32 v20, 0
	v_or_b32_e32 v21, 0x10000, v11
	v_cmp_eq_u32_sdwa vcc, v11, v20 src0_sel:WORD_0 src1_sel:DWORD
	v_cndmask_b32_e32 v20, v21, v11, vcc
; %bb.96:
	s_or_b64 exec, exec, s[0:1]
	v_and_b32_e32 v20, 0xffff0000, v20
	v_and_b32_e32 v10, 0xffff0000, v10
	v_pk_add_f32 v[10:11], v[20:21], v[10:11] op_sel_hi:[0,1]
	s_mov_b32 s0, 0x7f800000
	v_and_b32_e32 v11, 0x7f800000, v10
	v_cmp_ne_u32_e32 vcc, s0, v11
                                        ; implicit-def: $vgpr20
	s_and_saveexec_b64 s[0:1], vcc
	s_xor_b64 s[0:1], exec, s[0:1]
; %bb.97:
	v_bfe_u32 v11, v10, 16, 1
	s_movk_i32 s2, 0x7fff
	v_add3_u32 v20, v10, v11, s2
                                        ; implicit-def: $vgpr10_vgpr11
; %bb.98:
	s_andn2_saveexec_b64 s[0:1], s[0:1]
; %bb.99:
	v_mov_b32_e32 v11, 0
	v_or_b32_e32 v20, 0x10000, v10
	v_cmp_eq_u32_sdwa vcc, v10, v11 src0_sel:WORD_0 src1_sel:DWORD
	v_cndmask_b32_e32 v20, v20, v10, vcc
; %bb.100:
	s_or_b64 exec, exec, s[0:1]
	v_mbcnt_lo_u32_b32 v10, -1, 0
	v_mbcnt_hi_u32_b32 v23, -1, v10
	v_and_b32_e32 v10, 64, v23
	v_add_u32_e32 v24, 64, v10
	v_xor_b32_e32 v10, 32, v23
	v_cmp_lt_i32_e32 vcc, v10, v24
	v_cndmask_b32_e32 v10, v23, v10, vcc
	v_and_b32_e32 v11, 0xffff0000, v20
	v_lshlrev_b32_e32 v10, 2, v10
	ds_bpermute_b32 v20, v10, v11
	v_xor_b32_e32 v21, 16, v23
	v_cmp_lt_i32_e32 vcc, v21, v24
	v_xor_b32_e32 v22, 8, v23
	v_xor_b32_e32 v25, 4, v23
	s_waitcnt lgkmcnt(0)
	v_add_f32_e32 v20, v11, v20
	v_cndmask_b32_e32 v11, v23, v21, vcc
	v_lshlrev_b32_e32 v11, 2, v11
	ds_bpermute_b32 v21, v11, v20
	v_cmp_lt_i32_e32 vcc, v22, v24
	v_xor_b32_e32 v26, 2, v23
	v_xor_b32_e32 v27, 1, v23
	s_waitcnt lgkmcnt(0)
	v_add_f32_e32 v21, v20, v21
	v_cndmask_b32_e32 v20, v23, v22, vcc
	v_lshlrev_b32_e32 v20, 2, v20
	ds_bpermute_b32 v22, v20, v21
	v_cmp_lt_i32_e32 vcc, v25, v24
	s_waitcnt lgkmcnt(0)
	v_add_f32_e32 v22, v21, v22
	v_cndmask_b32_e32 v21, v23, v25, vcc
	v_lshlrev_b32_e32 v21, 2, v21
	ds_bpermute_b32 v25, v21, v22
	v_cmp_lt_i32_e32 vcc, v26, v24
	;; [unrolled: 6-line block ×3, first 2 shown]
	v_cndmask_b32_e32 v23, v23, v27, vcc
	v_lshlrev_b32_e32 v23, 2, v23
	v_and_b32_e32 v24, 63, v0
	s_waitcnt lgkmcnt(0)
	v_add_f32_e32 v26, v25, v26
	ds_bpermute_b32 v27, v23, v26
	v_cmp_eq_u32_e64 s[0:1], 0, v24
	v_lshrrev_b32_e32 v25, 4, v0
	s_and_saveexec_b64 s[2:3], s[0:1]
	s_cbranch_execz .LBB16_102
; %bb.101:
	s_waitcnt lgkmcnt(0)
	v_add_f32_e32 v26, v26, v27
	ds_write_b32 v25, v26
.LBB16_102:
	s_or_b64 exec, exec, s[2:3]
	s_lshr_b32 s2, s10, 6
	v_cmp_gt_u32_e64 s[2:3], s2, v0
	s_waitcnt lgkmcnt(0)
	v_mov_b32_e32 v27, 0
	v_lshlrev_b32_e32 v26, 2, v24
	s_barrier
	s_and_saveexec_b64 s[6:7], s[2:3]
	s_cbranch_execz .LBB16_104
; %bb.103:
	ds_read_b32 v27, v26
.LBB16_104:
	s_or_b64 exec, exec, s[6:7]
	s_waitcnt lgkmcnt(0)
	ds_bpermute_b32 v24, v10, v27
	v_cmp_eq_u32_e64 s[6:7], 0, v0
	s_waitcnt lgkmcnt(0)
	v_add_f32_e32 v24, v27, v24
	ds_bpermute_b32 v27, v11, v24
	s_waitcnt lgkmcnt(0)
	v_add_f32_e32 v24, v24, v27
	ds_bpermute_b32 v27, v20, v24
	;; [unrolled: 3-line block ×5, first 2 shown]
	v_cvt_f32_i32_e32 v24, s9
	s_and_saveexec_b64 s[10:11], s[6:7]
	s_cbranch_execz .LBB16_106
; %bb.105:
	s_waitcnt lgkmcnt(0)
	v_add_f32_e32 v0, v27, v28
	v_div_scale_f32 v27, s[12:13], v24, v24, v0
	v_rcp_f32_e32 v28, v27
	v_div_scale_f32 v29, vcc, v0, v24, v0
	v_fma_f32 v30, -v27, v28, 1.0
	v_fmac_f32_e32 v28, v30, v28
	v_mul_f32_e32 v30, v29, v28
	v_fma_f32 v31, -v27, v30, v29
	v_fmac_f32_e32 v30, v31, v28
	v_fma_f32 v27, -v27, v30, v29
	v_div_fmas_f32 v27, v27, v28, v30
	v_div_fixup_f32 v0, v27, v24, v0
	v_mov_b32_e32 v27, 0
	ds_write_b32 v27, v0 offset:68
.LBB16_106:
	s_or_b64 exec, exec, s[10:11]
	v_mov_b32_e32 v0, 0
	s_waitcnt lgkmcnt(0)
	s_barrier
	ds_read_b32 v0, v0 offset:68
	s_waitcnt lgkmcnt(0)
	v_readfirstlane_b32 s9, v0
	s_and_b32 s12, s9, 0x7f800000
	s_cmp_lg_u32 s12, 0x7f800000
	s_cselect_b64 s[10:11], -1, 0
	s_cmp_eq_u32 s12, 0x7f800000
	s_cbranch_scc1 .LBB16_108
; %bb.107:
	s_bfe_u32 s12, s9, 0x10010
	s_add_i32 s12, s9, s12
	s_add_i32 s15, s12, 0x7fff
	s_cbranch_execz .LBB16_109
	s_branch .LBB16_110
.LBB16_108:
                                        ; implicit-def: $sgpr15
.LBB16_109:
	s_and_b32 s12, s9, 0xffff
	s_or_b32 s13, s9, 0x10000
	s_cmp_eq_u32 s12, 0
	s_cselect_b32 s15, s9, s13
.LBB16_110:
	s_andn2_b64 vcc, exec, s[10:11]
	s_cbranch_vccnz .LBB16_112
; %bb.111:
	s_bfe_u32 s10, s9, 0x10010
	s_add_i32 s10, s9, s10
	s_add_i32 s12, s10, 0x7fff
	s_cbranch_execz .LBB16_113
	s_branch .LBB16_114
.LBB16_112:
                                        ; implicit-def: $sgpr12
.LBB16_113:
	s_and_b32 s10, s9, 0xffff
	s_or_b32 s11, s9, 0x10000
	s_cmp_eq_u32 s10, 0
	s_cselect_b32 s12, s9, s11
.LBB16_114:
	s_and_b32 s9, s15, 0xffff0000
	v_subrev_f32_e32 v14, s9, v14
	s_mov_b32 s10, 0x7f800000
	v_and_b32_e32 v0, 0x7f800000, v14
	v_cmp_ne_u32_e32 vcc, s10, v0
                                        ; implicit-def: $vgpr0
	s_and_saveexec_b64 s[10:11], vcc
	s_xor_b64 s[10:11], exec, s[10:11]
; %bb.115:
	v_bfe_u32 v0, v14, 16, 1
	s_movk_i32 s13, 0x7fff
	v_add3_u32 v0, v14, v0, s13
                                        ; implicit-def: $vgpr14
; %bb.116:
	s_andn2_saveexec_b64 s[10:11], s[10:11]
; %bb.117:
	v_mov_b32_e32 v0, 0
	v_or_b32_e32 v27, 0x10000, v14
	v_cmp_eq_u32_sdwa vcc, v14, v0 src0_sel:WORD_0 src1_sel:DWORD
	v_cndmask_b32_e32 v0, v27, v14, vcc
; %bb.118:
	s_or_b64 exec, exec, s[10:11]
	s_and_b32 s12, s12, 0xffff0000
	v_subrev_f32_e32 v15, s12, v15
	s_mov_b32 s10, 0x7f800000
	v_and_b32_e32 v14, 0x7f800000, v15
	v_cmp_ne_u32_e32 vcc, s10, v14
                                        ; implicit-def: $vgpr14
	s_and_saveexec_b64 s[10:11], vcc
	s_xor_b64 s[10:11], exec, s[10:11]
; %bb.119:
	v_bfe_u32 v14, v15, 16, 1
	s_movk_i32 s13, 0x7fff
	v_add3_u32 v14, v15, v14, s13
                                        ; implicit-def: $vgpr15
; %bb.120:
	s_andn2_saveexec_b64 s[10:11], s[10:11]
; %bb.121:
	v_mov_b32_e32 v14, 0
	v_or_b32_e32 v27, 0x10000, v15
	v_cmp_eq_u32_sdwa vcc, v15, v14 src0_sel:WORD_0 src1_sel:DWORD
	v_cndmask_b32_e32 v14, v27, v15, vcc
; %bb.122:
	s_or_b64 exec, exec, s[10:11]
	v_subrev_f32_e32 v16, s9, v16
	s_mov_b32 s10, 0x7f800000
	v_and_b32_e32 v15, 0x7f800000, v16
	v_cmp_ne_u32_e32 vcc, s10, v15
                                        ; implicit-def: $vgpr15
	s_and_saveexec_b64 s[10:11], vcc
	s_xor_b64 s[10:11], exec, s[10:11]
; %bb.123:
	v_bfe_u32 v15, v16, 16, 1
	s_movk_i32 s13, 0x7fff
	v_add3_u32 v15, v16, v15, s13
                                        ; implicit-def: $vgpr16
; %bb.124:
	s_andn2_saveexec_b64 s[10:11], s[10:11]
; %bb.125:
	v_mov_b32_e32 v15, 0
	v_or_b32_e32 v27, 0x10000, v16
	v_cmp_eq_u32_sdwa vcc, v16, v15 src0_sel:WORD_0 src1_sel:DWORD
	v_cndmask_b32_e32 v15, v27, v16, vcc
; %bb.126:
	s_or_b64 exec, exec, s[10:11]
	v_subrev_f32_e32 v17, s12, v17
	s_mov_b32 s10, 0x7f800000
	v_and_b32_e32 v16, 0x7f800000, v17
	v_cmp_ne_u32_e32 vcc, s10, v16
                                        ; implicit-def: $vgpr16
	s_and_saveexec_b64 s[10:11], vcc
	s_xor_b64 s[10:11], exec, s[10:11]
; %bb.127:
	v_bfe_u32 v16, v17, 16, 1
	s_movk_i32 s13, 0x7fff
	v_add3_u32 v16, v17, v16, s13
                                        ; implicit-def: $vgpr17
; %bb.128:
	s_andn2_saveexec_b64 s[10:11], s[10:11]
; %bb.129:
	v_mov_b32_e32 v16, 0
	v_or_b32_e32 v27, 0x10000, v17
	v_cmp_eq_u32_sdwa vcc, v17, v16 src0_sel:WORD_0 src1_sel:DWORD
	v_cndmask_b32_e32 v16, v27, v17, vcc
; %bb.130:
	s_or_b64 exec, exec, s[10:11]
	v_subrev_f32_e32 v17, s9, v13
	s_mov_b32 s10, 0x7f800000
	v_and_b32_e32 v13, 0x7f800000, v17
	v_cmp_ne_u32_e32 vcc, s10, v13
                                        ; implicit-def: $vgpr13
	s_and_saveexec_b64 s[10:11], vcc
	s_xor_b64 s[10:11], exec, s[10:11]
; %bb.131:
	v_bfe_u32 v13, v17, 16, 1
	s_movk_i32 s13, 0x7fff
	v_add3_u32 v13, v17, v13, s13
                                        ; implicit-def: $vgpr17
; %bb.132:
	s_andn2_saveexec_b64 s[10:11], s[10:11]
; %bb.133:
	v_mov_b32_e32 v13, 0
	v_or_b32_e32 v27, 0x10000, v17
	v_cmp_eq_u32_sdwa vcc, v17, v13 src0_sel:WORD_0 src1_sel:DWORD
	v_cndmask_b32_e32 v13, v27, v17, vcc
; %bb.134:
	s_or_b64 exec, exec, s[10:11]
	v_subrev_f32_e32 v17, s12, v18
	s_mov_b32 s10, 0x7f800000
	v_and_b32_e32 v18, 0x7f800000, v17
	v_cmp_ne_u32_e32 vcc, s10, v18
                                        ; implicit-def: $vgpr27
	s_and_saveexec_b64 s[10:11], vcc
	s_xor_b64 s[10:11], exec, s[10:11]
; %bb.135:
	v_bfe_u32 v18, v17, 16, 1
	s_movk_i32 s13, 0x7fff
	v_add3_u32 v27, v17, v18, s13
                                        ; implicit-def: $vgpr17
; %bb.136:
	s_andn2_saveexec_b64 s[10:11], s[10:11]
; %bb.137:
	v_mov_b32_e32 v18, 0
	v_or_b32_e32 v27, 0x10000, v17
	v_cmp_eq_u32_sdwa vcc, v17, v18 src0_sel:WORD_0 src1_sel:DWORD
	v_cndmask_b32_e32 v27, v27, v17, vcc
; %bb.138:
	s_or_b64 exec, exec, s[10:11]
	v_subrev_f32_e32 v17, s9, v12
	s_mov_b32 s9, 0x7f800000
	v_and_b32_e32 v12, 0x7f800000, v17
	v_cmp_ne_u32_e32 vcc, s9, v12
                                        ; implicit-def: $vgpr12
	s_and_saveexec_b64 s[10:11], vcc
	s_xor_b64 s[10:11], exec, s[10:11]
; %bb.139:
	v_bfe_u32 v12, v17, 16, 1
	s_movk_i32 s9, 0x7fff
	v_add3_u32 v12, v17, v12, s9
                                        ; implicit-def: $vgpr17
; %bb.140:
	s_andn2_saveexec_b64 s[10:11], s[10:11]
; %bb.141:
	v_mov_b32_e32 v12, 0
	v_or_b32_e32 v18, 0x10000, v17
	v_cmp_eq_u32_sdwa vcc, v17, v12 src0_sel:WORD_0 src1_sel:DWORD
	v_cndmask_b32_e32 v12, v18, v17, vcc
; %bb.142:
	s_or_b64 exec, exec, s[10:11]
	v_subrev_f32_e32 v17, s12, v19
	s_mov_b32 s9, 0x7f800000
	v_and_b32_e32 v18, 0x7f800000, v17
	v_cmp_ne_u32_e32 vcc, s9, v18
                                        ; implicit-def: $vgpr19
	s_and_saveexec_b64 s[10:11], vcc
	s_xor_b64 s[10:11], exec, s[10:11]
; %bb.143:
	v_bfe_u32 v18, v17, 16, 1
	s_movk_i32 s9, 0x7fff
	v_add3_u32 v19, v17, v18, s9
                                        ; implicit-def: $vgpr17
; %bb.144:
	s_andn2_saveexec_b64 s[10:11], s[10:11]
; %bb.145:
	v_mov_b32_e32 v18, 0
	v_or_b32_e32 v19, 0x10000, v17
	v_cmp_eq_u32_sdwa vcc, v17, v18 src0_sel:WORD_0 src1_sel:DWORD
	v_cndmask_b32_e32 v19, v19, v17, vcc
; %bb.146:
	s_or_b64 exec, exec, s[10:11]
	v_and_b32_e32 v18, 0xffff0000, v0
	v_and_b32_e32 v0, 0xffff0000, v14
	;; [unrolled: 1-line block ×3, first 2 shown]
	v_mul_f32_e32 v14, v0, v0
	v_and_b32_e32 v17, 0xffff0000, v15
	v_mul_f32_e32 v15, v16, v16
	v_fmac_f32_e32 v14, v18, v18
	v_fmac_f32_e32 v15, v17, v17
	v_add_f32_e32 v28, v14, v15
	v_and_b32_e32 v14, 0xffff0000, v27
	v_and_b32_e32 v15, 0xffff0000, v13
	v_mul_f32_e32 v13, v14, v14
	v_fmac_f32_e32 v13, v15, v15
	v_add_f32_e32 v27, v28, v13
	v_and_b32_e32 v13, 0xffff0000, v12
	v_and_b32_e32 v12, 0xffff0000, v19
	v_mul_f32_e32 v19, v12, v12
	v_fmac_f32_e32 v19, v13, v13
	v_add_f32_e32 v19, v27, v19
	ds_bpermute_b32 v27, v10, v19
	s_waitcnt lgkmcnt(0)
	v_add_f32_e32 v19, v19, v27
	ds_bpermute_b32 v27, v11, v19
	s_waitcnt lgkmcnt(0)
	;; [unrolled: 3-line block ×5, first 2 shown]
	v_add_f32_e32 v19, v19, v27
	ds_bpermute_b32 v27, v23, v19
	s_and_saveexec_b64 s[10:11], s[0:1]
	s_xor_b64 s[0:1], exec, s[10:11]
	s_cbranch_execz .LBB16_148
; %bb.147:
	s_waitcnt lgkmcnt(0)
	v_add_f32_e32 v19, v19, v27
	ds_write_b32 v25, v19
.LBB16_148:
	s_or_b64 exec, exec, s[0:1]
	v_mov_b32_e32 v19, 0
	s_waitcnt lgkmcnt(0)
	s_barrier
	s_and_saveexec_b64 s[0:1], s[2:3]
	s_cbranch_execz .LBB16_150
; %bb.149:
	ds_read_b32 v19, v26
.LBB16_150:
	s_or_b64 exec, exec, s[0:1]
	s_waitcnt lgkmcnt(0)
	ds_bpermute_b32 v10, v10, v19
	s_waitcnt lgkmcnt(0)
	v_add_f32_e32 v10, v19, v10
	ds_bpermute_b32 v11, v11, v10
	s_waitcnt lgkmcnt(0)
	v_add_f32_e32 v10, v10, v11
	;; [unrolled: 3-line block ×5, first 2 shown]
	ds_bpermute_b32 v11, v23, v10
	s_and_saveexec_b64 s[0:1], s[6:7]
	s_cbranch_execz .LBB16_152
; %bb.151:
	s_waitcnt lgkmcnt(0)
	v_add_f32_e32 v10, v10, v11
	v_div_scale_f32 v11, s[2:3], v24, v24, v10
	v_rcp_f32_e32 v19, v11
	v_div_scale_f32 v20, vcc, v10, v24, v10
	s_mov_b32 s2, 0x800000
	v_fma_f32 v21, -v11, v19, 1.0
	v_fmac_f32_e32 v19, v21, v19
	v_mul_f32_e32 v21, v20, v19
	v_fma_f32 v22, -v11, v21, v20
	v_fmac_f32_e32 v21, v22, v19
	v_fma_f32 v11, -v11, v21, v20
	v_div_fmas_f32 v11, v11, v19, v21
	v_div_fixup_f32 v10, v11, v24, v10
	v_add_f32_e32 v10, s8, v10
	v_mul_f32_e32 v11, 0x4b800000, v10
	v_cmp_gt_f32_e32 vcc, s2, v10
	v_cndmask_b32_e32 v10, v10, v11, vcc
	v_rsq_f32_e32 v10, v10
	v_mul_f32_e32 v11, 0x45800000, v10
	v_cndmask_b32_e32 v10, v10, v11, vcc
	v_mov_b32_e32 v11, 0
	ds_write_b32 v11, v10 offset:64
.LBB16_152:
	s_or_b64 exec, exec, s[0:1]
	v_mov_b32_e32 v10, 0
	s_waitcnt lgkmcnt(0)
	s_barrier
	ds_read_b32 v10, v10 offset:64
	s_waitcnt lgkmcnt(0)
	v_readfirstlane_b32 s8, v10
	s_and_b32 s0, s8, 0x7f800000
	s_cmp_lg_u32 s0, 0x7f800000
	s_cselect_b64 s[6:7], -1, 0
	s_cmp_eq_u32 s0, 0x7f800000
	s_cbranch_scc1 .LBB16_154
; %bb.153:
	s_bfe_u32 s0, s8, 0x10010
	s_add_i32 s0, s8, s0
	s_add_i32 s9, s0, 0x7fff
	s_cbranch_execz .LBB16_155
	s_branch .LBB16_156
.LBB16_154:
                                        ; implicit-def: $sgpr9
.LBB16_155:
	s_and_b32 s0, s8, 0xffff
	s_or_b32 s1, s8, 0x10000
	s_cmp_eq_u32 s0, 0
	s_cselect_b32 s9, s8, s1
.LBB16_156:
	s_load_dwordx4 s[0:3], s[4:5], 0x18
	s_andn2_b64 vcc, exec, s[6:7]
	s_cbranch_vccnz .LBB16_158
; %bb.157:
	s_bfe_u32 s4, s8, 0x10010
	s_add_i32 s4, s8, s4
	s_add_i32 s7, s4, 0x7fff
	s_cbranch_execz .LBB16_159
	s_branch .LBB16_160
.LBB16_158:
                                        ; implicit-def: $sgpr7
.LBB16_159:
	s_and_b32 s4, s8, 0xffff
	s_or_b32 s5, s8, 0x10000
	s_cmp_eq_u32 s4, 0
	s_cselect_b32 s7, s8, s5
.LBB16_160:
	s_waitcnt lgkmcnt(0)
	global_load_dword v11, v1, s[0:1]
	global_load_dword v10, v1, s[2:3]
	s_and_b32 s6, s9, 0xffff0000
	v_mul_f32_e32 v19, s6, v18
	s_mov_b32 s4, 0x7f800000
	v_and_b32_e32 v18, 0x7f800000, v19
	v_cmp_ne_u32_e32 vcc, s4, v18
                                        ; implicit-def: $vgpr18
	s_and_saveexec_b64 s[4:5], vcc
	s_xor_b64 s[4:5], exec, s[4:5]
; %bb.161:
	v_bfe_u32 v18, v19, 16, 1
	s_movk_i32 s8, 0x7fff
	v_add3_u32 v18, v19, v18, s8
                                        ; implicit-def: $vgpr19
; %bb.162:
	s_andn2_saveexec_b64 s[4:5], s[4:5]
; %bb.163:
	v_mov_b32_e32 v18, 0
	v_or_b32_e32 v20, 0x10000, v19
	v_cmp_eq_u32_sdwa vcc, v19, v18 src0_sel:WORD_0 src1_sel:DWORD
	v_cndmask_b32_e32 v18, v20, v19, vcc
; %bb.164:
	s_or_b64 exec, exec, s[4:5]
	s_and_b32 s7, s7, 0xffff0000
	v_mul_f32_e32 v19, s7, v0
	s_mov_b32 s4, 0x7f800000
	v_and_b32_e32 v0, 0x7f800000, v19
	v_cmp_ne_u32_e32 vcc, s4, v0
                                        ; implicit-def: $vgpr0
	s_and_saveexec_b64 s[4:5], vcc
	s_xor_b64 s[4:5], exec, s[4:5]
; %bb.165:
	v_bfe_u32 v0, v19, 16, 1
	s_movk_i32 s8, 0x7fff
	v_add3_u32 v0, v19, v0, s8
                                        ; implicit-def: $vgpr19
; %bb.166:
	s_andn2_saveexec_b64 s[4:5], s[4:5]
; %bb.167:
	v_mov_b32_e32 v0, 0
	v_or_b32_e32 v20, 0x10000, v19
	v_cmp_eq_u32_sdwa vcc, v19, v0 src0_sel:WORD_0 src1_sel:DWORD
	v_cndmask_b32_e32 v0, v20, v19, vcc
; %bb.168:
	s_or_b64 exec, exec, s[4:5]
	v_and_b32_e32 v18, 0xffff0000, v18
	s_waitcnt vmcnt(1)
	v_lshlrev_b32_e32 v19, 16, v11
	v_mul_f32_e32 v19, v19, v18
	s_mov_b32 s4, 0x7f800000
	v_and_b32_e32 v18, 0x7f800000, v19
	v_cmp_ne_u32_e32 vcc, s4, v18
                                        ; implicit-def: $vgpr18
	s_and_saveexec_b64 s[4:5], vcc
	s_xor_b64 s[4:5], exec, s[4:5]
; %bb.169:
	v_bfe_u32 v18, v19, 16, 1
	s_movk_i32 s8, 0x7fff
	v_add3_u32 v18, v19, v18, s8
                                        ; implicit-def: $vgpr19
; %bb.170:
	s_andn2_saveexec_b64 s[4:5], s[4:5]
; %bb.171:
	v_mov_b32_e32 v18, 0
	v_or_b32_e32 v20, 0x10000, v19
	v_cmp_eq_u32_sdwa vcc, v19, v18 src0_sel:WORD_0 src1_sel:DWORD
	v_cndmask_b32_e32 v18, v20, v19, vcc
; %bb.172:
	s_or_b64 exec, exec, s[4:5]
	v_and_b32_e32 v0, 0xffff0000, v0
	v_and_b32_e32 v11, 0xffff0000, v11
	v_mul_f32_e32 v11, v11, v0
	s_mov_b32 s4, 0x7f800000
	v_and_b32_e32 v0, 0x7f800000, v11
	v_cmp_ne_u32_e32 vcc, s4, v0
                                        ; implicit-def: $vgpr0
	s_and_saveexec_b64 s[4:5], vcc
	s_xor_b64 s[4:5], exec, s[4:5]
; %bb.173:
	v_bfe_u32 v0, v11, 16, 1
	s_movk_i32 s8, 0x7fff
	v_add3_u32 v0, v11, v0, s8
                                        ; implicit-def: $vgpr11
; %bb.174:
	s_andn2_saveexec_b64 s[4:5], s[4:5]
; %bb.175:
	v_mov_b32_e32 v0, 0
	v_or_b32_e32 v19, 0x10000, v11
	v_cmp_eq_u32_sdwa vcc, v11, v0 src0_sel:WORD_0 src1_sel:DWORD
	v_cndmask_b32_e32 v0, v19, v11, vcc
; %bb.176:
	s_or_b64 exec, exec, s[4:5]
	v_and_b32_e32 v11, 0xffff0000, v18
	s_waitcnt vmcnt(0)
	v_lshlrev_b32_e32 v18, 16, v10
	v_add_f32_e32 v11, v18, v11
	s_mov_b32 s4, 0x7f800000
	v_and_b32_e32 v18, 0x7f800000, v11
	v_cmp_ne_u32_e32 vcc, s4, v18
                                        ; implicit-def: $vgpr20
	s_and_saveexec_b64 s[4:5], vcc
	s_xor_b64 s[4:5], exec, s[4:5]
; %bb.177:
	v_bfe_u32 v18, v11, 16, 1
	s_movk_i32 s8, 0x7fff
	v_add3_u32 v20, v11, v18, s8
                                        ; implicit-def: $vgpr11
; %bb.178:
	s_or_saveexec_b64 s[4:5], s[4:5]
	v_mov_b32_e32 v18, s1
	v_mov_b32_e32 v22, s3
	s_xor_b64 exec, exec, s[4:5]
; %bb.179:
	v_mov_b32_e32 v19, 0
	v_or_b32_e32 v20, 0x10000, v11
	v_cmp_eq_u32_sdwa vcc, v11, v19 src0_sel:WORD_0 src1_sel:DWORD
	v_cndmask_b32_e32 v20, v20, v11, vcc
; %bb.180:
	s_or_b64 exec, exec, s[4:5]
	v_add_co_u32_e32 v19, vcc, s0, v1
	v_addc_co_u32_e32 v21, vcc, 0, v18, vcc
	v_add_co_u32_e32 v11, vcc, s2, v1
	v_and_b32_e32 v0, 0xffff0000, v0
	v_and_b32_e32 v1, 0xffff0000, v10
	v_add_f32_e32 v0, v1, v0
	v_addc_co_u32_e32 v18, vcc, 0, v22, vcc
	s_mov_b32 s0, 0x7f800000
	v_and_b32_e32 v1, 0x7f800000, v0
	v_cmp_ne_u32_e32 vcc, s0, v1
                                        ; implicit-def: $vgpr22
	s_and_saveexec_b64 s[0:1], vcc
	s_xor_b64 s[0:1], exec, s[0:1]
; %bb.181:
	v_bfe_u32 v1, v0, 16, 1
	s_movk_i32 s2, 0x7fff
	v_add3_u32 v22, v0, v1, s2
                                        ; implicit-def: $vgpr0
; %bb.182:
	s_andn2_saveexec_b64 s[0:1], s[0:1]
; %bb.183:
	v_mov_b32_e32 v1, 0
	v_or_b32_e32 v10, 0x10000, v0
	v_cmp_eq_u32_sdwa vcc, v0, v1 src0_sel:WORD_0 src1_sel:DWORD
	v_cndmask_b32_e32 v22, v10, v0, vcc
; %bb.184:
	s_or_b64 exec, exec, s[0:1]
	v_add_co_u32_e32 v0, vcc, s14, v19
	v_addc_co_u32_e32 v1, vcc, 0, v21, vcc
	v_add_co_u32_e32 v10, vcc, s14, v11
	v_addc_co_u32_e32 v11, vcc, 0, v18, vcc
	global_load_dword v19, v[0:1], off
	global_load_dword v18, v[10:11], off
	s_mov_b32 s0, 0x7060302
	v_perm_b32 v20, v22, v20, s0
	global_store_dword v[2:3], v20, off
	v_mul_f32_e32 v2, s6, v17
	s_mov_b32 s0, 0x7f800000
	v_and_b32_e32 v3, 0x7f800000, v2
	v_cmp_ne_u32_e32 vcc, s0, v3
                                        ; implicit-def: $vgpr3
	s_and_saveexec_b64 s[0:1], vcc
	s_xor_b64 s[0:1], exec, s[0:1]
; %bb.185:
	v_bfe_u32 v3, v2, 16, 1
	s_movk_i32 s2, 0x7fff
	v_add3_u32 v3, v2, v3, s2
                                        ; implicit-def: $vgpr2
; %bb.186:
	s_andn2_saveexec_b64 s[0:1], s[0:1]
; %bb.187:
	v_mov_b32_e32 v3, 0
	v_or_b32_e32 v17, 0x10000, v2
	v_cmp_eq_u32_sdwa vcc, v2, v3 src0_sel:WORD_0 src1_sel:DWORD
	v_cndmask_b32_e32 v3, v17, v2, vcc
; %bb.188:
	s_or_b64 exec, exec, s[0:1]
	v_mul_f32_e32 v16, s7, v16
	s_mov_b32 s0, 0x7f800000
	v_and_b32_e32 v2, 0x7f800000, v16
	v_cmp_ne_u32_e32 vcc, s0, v2
                                        ; implicit-def: $vgpr2
	s_and_saveexec_b64 s[0:1], vcc
	s_xor_b64 s[0:1], exec, s[0:1]
; %bb.189:
	v_bfe_u32 v2, v16, 16, 1
	s_movk_i32 s2, 0x7fff
	v_add3_u32 v2, v16, v2, s2
                                        ; implicit-def: $vgpr16
; %bb.190:
	s_andn2_saveexec_b64 s[0:1], s[0:1]
; %bb.191:
	v_mov_b32_e32 v2, 0
	v_or_b32_e32 v17, 0x10000, v16
	v_cmp_eq_u32_sdwa vcc, v16, v2 src0_sel:WORD_0 src1_sel:DWORD
	v_cndmask_b32_e32 v2, v17, v16, vcc
; %bb.192:
	s_or_b64 exec, exec, s[0:1]
	v_and_b32_e32 v3, 0xffff0000, v3
	s_waitcnt vmcnt(2)
	v_lshlrev_b32_e32 v16, 16, v19
	v_mul_f32_e32 v16, v16, v3
	s_mov_b32 s0, 0x7f800000
	v_and_b32_e32 v3, 0x7f800000, v16
	v_cmp_ne_u32_e32 vcc, s0, v3
                                        ; implicit-def: $vgpr3
	s_and_saveexec_b64 s[0:1], vcc
	s_xor_b64 s[0:1], exec, s[0:1]
; %bb.193:
	v_bfe_u32 v3, v16, 16, 1
	s_movk_i32 s2, 0x7fff
	v_add3_u32 v3, v16, v3, s2
                                        ; implicit-def: $vgpr16
; %bb.194:
	s_andn2_saveexec_b64 s[0:1], s[0:1]
; %bb.195:
	v_mov_b32_e32 v3, 0
	v_or_b32_e32 v17, 0x10000, v16
	v_cmp_eq_u32_sdwa vcc, v16, v3 src0_sel:WORD_0 src1_sel:DWORD
	v_cndmask_b32_e32 v3, v17, v16, vcc
; %bb.196:
	s_or_b64 exec, exec, s[0:1]
	v_and_b32_e32 v2, 0xffff0000, v2
	v_and_b32_e32 v16, 0xffff0000, v19
	v_mul_f32_e32 v16, v16, v2
	s_mov_b32 s0, 0x7f800000
	v_and_b32_e32 v2, 0x7f800000, v16
	v_cmp_ne_u32_e32 vcc, s0, v2
                                        ; implicit-def: $vgpr2
	s_and_saveexec_b64 s[0:1], vcc
	s_xor_b64 s[0:1], exec, s[0:1]
; %bb.197:
	v_bfe_u32 v2, v16, 16, 1
	s_movk_i32 s2, 0x7fff
	v_add3_u32 v2, v16, v2, s2
                                        ; implicit-def: $vgpr16
; %bb.198:
	s_andn2_saveexec_b64 s[0:1], s[0:1]
; %bb.199:
	v_mov_b32_e32 v2, 0
	v_or_b32_e32 v17, 0x10000, v16
	v_cmp_eq_u32_sdwa vcc, v16, v2 src0_sel:WORD_0 src1_sel:DWORD
	v_cndmask_b32_e32 v2, v17, v16, vcc
; %bb.200:
	s_or_b64 exec, exec, s[0:1]
	v_and_b32_e32 v3, 0xffff0000, v3
	s_waitcnt vmcnt(1)
	v_lshlrev_b32_e32 v16, 16, v18
	v_add_f32_e32 v3, v16, v3
	s_mov_b32 s0, 0x7f800000
	v_and_b32_e32 v16, 0x7f800000, v3
	v_cmp_ne_u32_e32 vcc, s0, v16
                                        ; implicit-def: $vgpr17
	s_and_saveexec_b64 s[0:1], vcc
	s_xor_b64 s[0:1], exec, s[0:1]
; %bb.201:
	v_bfe_u32 v16, v3, 16, 1
	s_movk_i32 s2, 0x7fff
	v_add3_u32 v17, v3, v16, s2
                                        ; implicit-def: $vgpr3
; %bb.202:
	s_andn2_saveexec_b64 s[0:1], s[0:1]
; %bb.203:
	v_mov_b32_e32 v16, 0
	v_or_b32_e32 v17, 0x10000, v3
	v_cmp_eq_u32_sdwa vcc, v3, v16 src0_sel:WORD_0 src1_sel:DWORD
	v_cndmask_b32_e32 v17, v17, v3, vcc
; %bb.204:
	s_or_b64 exec, exec, s[0:1]
	v_and_b32_e32 v2, 0xffff0000, v2
	v_and_b32_e32 v3, 0xffff0000, v18
	v_add_f32_e32 v2, v3, v2
	s_mov_b32 s0, 0x7f800000
	v_and_b32_e32 v3, 0x7f800000, v2
	v_cmp_ne_u32_e32 vcc, s0, v3
                                        ; implicit-def: $vgpr18
	s_and_saveexec_b64 s[0:1], vcc
	s_xor_b64 s[0:1], exec, s[0:1]
; %bb.205:
	v_bfe_u32 v3, v2, 16, 1
	s_movk_i32 s2, 0x7fff
	v_add3_u32 v18, v2, v3, s2
                                        ; implicit-def: $vgpr2
; %bb.206:
	s_andn2_saveexec_b64 s[0:1], s[0:1]
; %bb.207:
	v_mov_b32_e32 v3, 0
	v_or_b32_e32 v16, 0x10000, v2
	v_cmp_eq_u32_sdwa vcc, v2, v3 src0_sel:WORD_0 src1_sel:DWORD
	v_cndmask_b32_e32 v18, v16, v2, vcc
; %bb.208:
	s_or_b64 exec, exec, s[0:1]
	v_add_co_u32_e32 v0, vcc, s14, v0
	v_addc_co_u32_e32 v1, vcc, 0, v1, vcc
	v_add_co_u32_e32 v2, vcc, s14, v10
	v_addc_co_u32_e32 v3, vcc, 0, v11, vcc
	global_load_dword v16, v[0:1], off
	global_load_dword v10, v[2:3], off
	s_mov_b32 s0, 0x7060302
	v_perm_b32 v11, v18, v17, s0
	global_store_dword v[4:5], v11, off
	v_mul_f32_e32 v4, s6, v15
	s_mov_b32 s0, 0x7f800000
	v_and_b32_e32 v5, 0x7f800000, v4
	v_cmp_ne_u32_e32 vcc, s0, v5
                                        ; implicit-def: $vgpr5
	s_and_saveexec_b64 s[0:1], vcc
	s_xor_b64 s[0:1], exec, s[0:1]
; %bb.209:
	v_bfe_u32 v5, v4, 16, 1
	s_movk_i32 s2, 0x7fff
	v_add3_u32 v5, v4, v5, s2
                                        ; implicit-def: $vgpr4
; %bb.210:
	s_andn2_saveexec_b64 s[0:1], s[0:1]
; %bb.211:
	v_mov_b32_e32 v5, 0
	v_or_b32_e32 v11, 0x10000, v4
	v_cmp_eq_u32_sdwa vcc, v4, v5 src0_sel:WORD_0 src1_sel:DWORD
	v_cndmask_b32_e32 v5, v11, v4, vcc
; %bb.212:
	s_or_b64 exec, exec, s[0:1]
	v_mul_f32_e32 v11, s7, v14
	s_mov_b32 s0, 0x7f800000
	v_and_b32_e32 v4, 0x7f800000, v11
	v_cmp_ne_u32_e32 vcc, s0, v4
                                        ; implicit-def: $vgpr4
	s_and_saveexec_b64 s[0:1], vcc
	s_xor_b64 s[0:1], exec, s[0:1]
; %bb.213:
	v_bfe_u32 v4, v11, 16, 1
	s_movk_i32 s2, 0x7fff
	v_add3_u32 v4, v11, v4, s2
                                        ; implicit-def: $vgpr11
; %bb.214:
	s_andn2_saveexec_b64 s[0:1], s[0:1]
; %bb.215:
	v_mov_b32_e32 v4, 0
	v_or_b32_e32 v14, 0x10000, v11
	v_cmp_eq_u32_sdwa vcc, v11, v4 src0_sel:WORD_0 src1_sel:DWORD
	v_cndmask_b32_e32 v4, v14, v11, vcc
; %bb.216:
	s_or_b64 exec, exec, s[0:1]
	v_and_b32_e32 v5, 0xffff0000, v5
	s_waitcnt vmcnt(2)
	v_lshlrev_b32_e32 v11, 16, v16
	v_mul_f32_e32 v11, v11, v5
	s_mov_b32 s0, 0x7f800000
	v_and_b32_e32 v5, 0x7f800000, v11
	v_cmp_ne_u32_e32 vcc, s0, v5
                                        ; implicit-def: $vgpr5
	s_and_saveexec_b64 s[0:1], vcc
	s_xor_b64 s[0:1], exec, s[0:1]
; %bb.217:
	v_bfe_u32 v5, v11, 16, 1
	s_movk_i32 s2, 0x7fff
	v_add3_u32 v5, v11, v5, s2
                                        ; implicit-def: $vgpr11
; %bb.218:
	s_andn2_saveexec_b64 s[0:1], s[0:1]
; %bb.219:
	v_mov_b32_e32 v5, 0
	v_or_b32_e32 v14, 0x10000, v11
	v_cmp_eq_u32_sdwa vcc, v11, v5 src0_sel:WORD_0 src1_sel:DWORD
	v_cndmask_b32_e32 v5, v14, v11, vcc
; %bb.220:
	s_or_b64 exec, exec, s[0:1]
	v_and_b32_e32 v4, 0xffff0000, v4
	v_and_b32_e32 v11, 0xffff0000, v16
	v_mul_f32_e32 v4, v11, v4
	s_mov_b32 s0, 0x7f800000
	v_and_b32_e32 v11, 0x7f800000, v4
	v_cmp_ne_u32_e32 vcc, s0, v11
                                        ; implicit-def: $vgpr11
	s_and_saveexec_b64 s[0:1], vcc
	s_xor_b64 s[0:1], exec, s[0:1]
; %bb.221:
	v_bfe_u32 v11, v4, 16, 1
	s_movk_i32 s2, 0x7fff
	v_add3_u32 v11, v4, v11, s2
                                        ; implicit-def: $vgpr4
; %bb.222:
	s_andn2_saveexec_b64 s[0:1], s[0:1]
; %bb.223:
	v_mov_b32_e32 v11, 0
	v_or_b32_e32 v14, 0x10000, v4
	v_cmp_eq_u32_sdwa vcc, v4, v11 src0_sel:WORD_0 src1_sel:DWORD
	v_cndmask_b32_e32 v11, v14, v4, vcc
; %bb.224:
	s_or_b64 exec, exec, s[0:1]
	v_and_b32_e32 v4, 0xffff0000, v5
	s_waitcnt vmcnt(1)
	v_lshlrev_b32_e32 v5, 16, v10
	v_add_f32_e32 v5, v5, v4
	s_mov_b32 s0, 0x7f800000
	v_and_b32_e32 v4, 0x7f800000, v5
	v_cmp_ne_u32_e32 vcc, s0, v4
                                        ; implicit-def: $vgpr4
	s_and_saveexec_b64 s[0:1], vcc
	s_xor_b64 s[0:1], exec, s[0:1]
; %bb.225:
	v_bfe_u32 v4, v5, 16, 1
	s_movk_i32 s2, 0x7fff
	v_add3_u32 v4, v5, v4, s2
                                        ; implicit-def: $vgpr5
; %bb.226:
	s_andn2_saveexec_b64 s[0:1], s[0:1]
; %bb.227:
	v_mov_b32_e32 v4, 0
	v_or_b32_e32 v14, 0x10000, v5
	v_cmp_eq_u32_sdwa vcc, v5, v4 src0_sel:WORD_0 src1_sel:DWORD
	v_cndmask_b32_e32 v4, v14, v5, vcc
; %bb.228:
	s_or_b64 exec, exec, s[0:1]
	v_and_b32_e32 v5, 0xffff0000, v11
	v_and_b32_e32 v10, 0xffff0000, v10
	v_add_f32_e32 v10, v10, v5
	s_mov_b32 s0, 0x7f800000
	v_and_b32_e32 v5, 0x7f800000, v10
	v_cmp_ne_u32_e32 vcc, s0, v5
                                        ; implicit-def: $vgpr5
	s_and_saveexec_b64 s[0:1], vcc
	s_xor_b64 s[0:1], exec, s[0:1]
; %bb.229:
	v_bfe_u32 v5, v10, 16, 1
	s_movk_i32 s2, 0x7fff
	v_add3_u32 v5, v10, v5, s2
                                        ; implicit-def: $vgpr10
; %bb.230:
	s_andn2_saveexec_b64 s[0:1], s[0:1]
; %bb.231:
	v_mov_b32_e32 v5, 0
	v_or_b32_e32 v11, 0x10000, v10
	v_cmp_eq_u32_sdwa vcc, v10, v5 src0_sel:WORD_0 src1_sel:DWORD
	v_cndmask_b32_e32 v5, v11, v10, vcc
; %bb.232:
	s_or_b64 exec, exec, s[0:1]
	v_add_co_u32_e32 v0, vcc, s14, v0
	v_addc_co_u32_e32 v1, vcc, 0, v1, vcc
	v_add_co_u32_e32 v2, vcc, s14, v2
	v_addc_co_u32_e32 v3, vcc, 0, v3, vcc
	global_load_dword v1, v[0:1], off
	s_mov_b32 s0, 0x7060302
	global_load_dword v0, v[2:3], off
	v_perm_b32 v2, v5, v4, s0
	global_store_dword v[6:7], v2, off
	v_mul_f32_e32 v2, s6, v13
	s_mov_b32 s0, 0x7f800000
	v_and_b32_e32 v3, 0x7f800000, v2
	v_cmp_ne_u32_e32 vcc, s0, v3
                                        ; implicit-def: $vgpr3
	s_and_saveexec_b64 s[0:1], vcc
	s_xor_b64 s[0:1], exec, s[0:1]
; %bb.233:
	v_bfe_u32 v3, v2, 16, 1
	s_movk_i32 s2, 0x7fff
	v_add3_u32 v3, v2, v3, s2
                                        ; implicit-def: $vgpr2
; %bb.234:
	s_andn2_saveexec_b64 s[0:1], s[0:1]
; %bb.235:
	v_mov_b32_e32 v3, 0
	v_or_b32_e32 v4, 0x10000, v2
	v_cmp_eq_u32_sdwa vcc, v2, v3 src0_sel:WORD_0 src1_sel:DWORD
	v_cndmask_b32_e32 v3, v4, v2, vcc
; %bb.236:
	s_or_b64 exec, exec, s[0:1]
	v_mul_f32_e32 v4, s7, v12
	s_mov_b32 s0, 0x7f800000
	v_and_b32_e32 v2, 0x7f800000, v4
	v_cmp_ne_u32_e32 vcc, s0, v2
                                        ; implicit-def: $vgpr2
	s_and_saveexec_b64 s[0:1], vcc
	s_xor_b64 s[0:1], exec, s[0:1]
; %bb.237:
	v_bfe_u32 v2, v4, 16, 1
	s_movk_i32 s2, 0x7fff
	v_add3_u32 v2, v4, v2, s2
                                        ; implicit-def: $vgpr4
; %bb.238:
	s_andn2_saveexec_b64 s[0:1], s[0:1]
; %bb.239:
	v_mov_b32_e32 v2, 0
	v_or_b32_e32 v5, 0x10000, v4
	v_cmp_eq_u32_sdwa vcc, v4, v2 src0_sel:WORD_0 src1_sel:DWORD
	v_cndmask_b32_e32 v2, v5, v4, vcc
; %bb.240:
	s_or_b64 exec, exec, s[0:1]
	v_and_b32_e32 v3, 0xffff0000, v3
	s_waitcnt vmcnt(2)
	v_lshlrev_b32_e32 v4, 16, v1
	v_mul_f32_e32 v4, v4, v3
	s_mov_b32 s0, 0x7f800000
	v_and_b32_e32 v3, 0x7f800000, v4
	v_cmp_ne_u32_e32 vcc, s0, v3
                                        ; implicit-def: $vgpr3
	s_and_saveexec_b64 s[0:1], vcc
	s_xor_b64 s[0:1], exec, s[0:1]
; %bb.241:
	v_bfe_u32 v3, v4, 16, 1
	s_movk_i32 s2, 0x7fff
	v_add3_u32 v3, v4, v3, s2
                                        ; implicit-def: $vgpr4
; %bb.242:
	s_andn2_saveexec_b64 s[0:1], s[0:1]
; %bb.243:
	v_mov_b32_e32 v3, 0
	v_or_b32_e32 v5, 0x10000, v4
	v_cmp_eq_u32_sdwa vcc, v4, v3 src0_sel:WORD_0 src1_sel:DWORD
	v_cndmask_b32_e32 v3, v5, v4, vcc
; %bb.244:
	s_or_b64 exec, exec, s[0:1]
	v_and_b32_e32 v2, 0xffff0000, v2
	v_and_b32_e32 v1, 0xffff0000, v1
	v_mul_f32_e32 v1, v1, v2
	s_mov_b32 s0, 0x7f800000
	v_and_b32_e32 v2, 0x7f800000, v1
	v_cmp_ne_u32_e32 vcc, s0, v2
                                        ; implicit-def: $vgpr2
	s_and_saveexec_b64 s[0:1], vcc
	s_xor_b64 s[0:1], exec, s[0:1]
; %bb.245:
	v_bfe_u32 v2, v1, 16, 1
	s_movk_i32 s2, 0x7fff
	v_add3_u32 v2, v1, v2, s2
                                        ; implicit-def: $vgpr1
; %bb.246:
	s_andn2_saveexec_b64 s[0:1], s[0:1]
; %bb.247:
	v_mov_b32_e32 v2, 0
	v_or_b32_e32 v4, 0x10000, v1
	v_cmp_eq_u32_sdwa vcc, v1, v2 src0_sel:WORD_0 src1_sel:DWORD
	v_cndmask_b32_e32 v2, v4, v1, vcc
; %bb.248:
	s_or_b64 exec, exec, s[0:1]
	v_and_b32_e32 v1, 0xffff0000, v3
	s_waitcnt vmcnt(1)
	v_lshlrev_b32_e32 v3, 16, v0
	v_add_f32_e32 v3, v3, v1
	s_mov_b32 s0, 0x7f800000
	v_and_b32_e32 v1, 0x7f800000, v3
	v_cmp_ne_u32_e32 vcc, s0, v1
                                        ; implicit-def: $vgpr1
	s_and_saveexec_b64 s[0:1], vcc
	s_xor_b64 s[0:1], exec, s[0:1]
; %bb.249:
	v_bfe_u32 v1, v3, 16, 1
	s_movk_i32 s2, 0x7fff
	v_add3_u32 v1, v3, v1, s2
                                        ; implicit-def: $vgpr3
; %bb.250:
	s_andn2_saveexec_b64 s[0:1], s[0:1]
; %bb.251:
	v_mov_b32_e32 v1, 0
	v_or_b32_e32 v4, 0x10000, v3
	v_cmp_eq_u32_sdwa vcc, v3, v1 src0_sel:WORD_0 src1_sel:DWORD
	v_cndmask_b32_e32 v1, v4, v3, vcc
; %bb.252:
	s_or_b64 exec, exec, s[0:1]
	v_and_b32_e32 v2, 0xffff0000, v2
	v_and_b32_e32 v0, 0xffff0000, v0
	v_add_f32_e32 v0, v0, v2
	s_mov_b32 s0, 0x7f800000
	v_and_b32_e32 v2, 0x7f800000, v0
	v_cmp_ne_u32_e32 vcc, s0, v2
                                        ; implicit-def: $vgpr2
	s_and_saveexec_b64 s[0:1], vcc
	s_xor_b64 s[0:1], exec, s[0:1]
; %bb.253:
	v_bfe_u32 v2, v0, 16, 1
	s_movk_i32 s2, 0x7fff
	v_add3_u32 v2, v0, v2, s2
                                        ; implicit-def: $vgpr0
; %bb.254:
	s_andn2_saveexec_b64 s[0:1], s[0:1]
; %bb.255:
	v_mov_b32_e32 v2, 0
	v_or_b32_e32 v3, 0x10000, v0
	v_cmp_eq_u32_sdwa vcc, v0, v2 src0_sel:WORD_0 src1_sel:DWORD
	v_cndmask_b32_e32 v2, v3, v0, vcc
; %bb.256:
	s_or_b64 exec, exec, s[0:1]
	s_mov_b32 s0, 0x7060302
	v_perm_b32 v0, v2, v1, s0
	global_store_dword v[8:9], v0, off
	s_endpgm
	.section	.rodata,"a",@progbits
	.p2align	6, 0x0
	.amdhsa_kernel _Z30addBiasResidualPostLayerNormV2I14__hip_bfloat16Li64EEvPT_PKS1_S4_S4_S4_fi
		.amdhsa_group_segment_fixed_size 72
		.amdhsa_private_segment_fixed_size 0
		.amdhsa_kernarg_size 304
		.amdhsa_user_sgpr_count 6
		.amdhsa_user_sgpr_private_segment_buffer 1
		.amdhsa_user_sgpr_dispatch_ptr 0
		.amdhsa_user_sgpr_queue_ptr 0
		.amdhsa_user_sgpr_kernarg_segment_ptr 1
		.amdhsa_user_sgpr_dispatch_id 0
		.amdhsa_user_sgpr_flat_scratch_init 0
		.amdhsa_user_sgpr_kernarg_preload_length 0
		.amdhsa_user_sgpr_kernarg_preload_offset 0
		.amdhsa_user_sgpr_private_segment_size 0
		.amdhsa_uses_dynamic_stack 0
		.amdhsa_system_sgpr_private_segment_wavefront_offset 0
		.amdhsa_system_sgpr_workgroup_id_x 1
		.amdhsa_system_sgpr_workgroup_id_y 0
		.amdhsa_system_sgpr_workgroup_id_z 0
		.amdhsa_system_sgpr_workgroup_info 0
		.amdhsa_system_vgpr_workitem_id 0
		.amdhsa_next_free_vgpr 32
		.amdhsa_next_free_sgpr 16
		.amdhsa_accum_offset 32
		.amdhsa_reserve_vcc 1
		.amdhsa_reserve_flat_scratch 0
		.amdhsa_float_round_mode_32 0
		.amdhsa_float_round_mode_16_64 0
		.amdhsa_float_denorm_mode_32 3
		.amdhsa_float_denorm_mode_16_64 3
		.amdhsa_dx10_clamp 1
		.amdhsa_ieee_mode 1
		.amdhsa_fp16_overflow 0
		.amdhsa_tg_split 0
		.amdhsa_exception_fp_ieee_invalid_op 0
		.amdhsa_exception_fp_denorm_src 0
		.amdhsa_exception_fp_ieee_div_zero 0
		.amdhsa_exception_fp_ieee_overflow 0
		.amdhsa_exception_fp_ieee_underflow 0
		.amdhsa_exception_fp_ieee_inexact 0
		.amdhsa_exception_int_div_zero 0
	.end_amdhsa_kernel
	.section	.text._Z30addBiasResidualPostLayerNormV2I14__hip_bfloat16Li64EEvPT_PKS1_S4_S4_S4_fi,"axG",@progbits,_Z30addBiasResidualPostLayerNormV2I14__hip_bfloat16Li64EEvPT_PKS1_S4_S4_S4_fi,comdat
.Lfunc_end16:
	.size	_Z30addBiasResidualPostLayerNormV2I14__hip_bfloat16Li64EEvPT_PKS1_S4_S4_S4_fi, .Lfunc_end16-_Z30addBiasResidualPostLayerNormV2I14__hip_bfloat16Li64EEvPT_PKS1_S4_S4_S4_fi
                                        ; -- End function
	.section	.AMDGPU.csdata,"",@progbits
; Kernel info:
; codeLenInByte = 7484
; NumSgprs: 20
; NumVgprs: 32
; NumAgprs: 0
; TotalNumVgprs: 32
; ScratchSize: 0
; MemoryBound: 0
; FloatMode: 240
; IeeeMode: 1
; LDSByteSize: 72 bytes/workgroup (compile time only)
; SGPRBlocks: 2
; VGPRBlocks: 3
; NumSGPRsForWavesPerEU: 20
; NumVGPRsForWavesPerEU: 32
; AccumOffset: 32
; Occupancy: 8
; WaveLimiterHint : 0
; COMPUTE_PGM_RSRC2:SCRATCH_EN: 0
; COMPUTE_PGM_RSRC2:USER_SGPR: 6
; COMPUTE_PGM_RSRC2:TRAP_HANDLER: 0
; COMPUTE_PGM_RSRC2:TGID_X_EN: 1
; COMPUTE_PGM_RSRC2:TGID_Y_EN: 0
; COMPUTE_PGM_RSRC2:TGID_Z_EN: 0
; COMPUTE_PGM_RSRC2:TIDIG_COMP_CNT: 0
; COMPUTE_PGM_RSRC3_GFX90A:ACCUM_OFFSET: 7
; COMPUTE_PGM_RSRC3_GFX90A:TG_SPLIT: 0
	.section	.text._Z30addBiasResidualPostLayerNormV2I14__hip_bfloat16Li32EEvPT_PKS1_S4_S4_S4_fi,"axG",@progbits,_Z30addBiasResidualPostLayerNormV2I14__hip_bfloat16Li32EEvPT_PKS1_S4_S4_S4_fi,comdat
	.protected	_Z30addBiasResidualPostLayerNormV2I14__hip_bfloat16Li32EEvPT_PKS1_S4_S4_S4_fi ; -- Begin function _Z30addBiasResidualPostLayerNormV2I14__hip_bfloat16Li32EEvPT_PKS1_S4_S4_S4_fi
	.globl	_Z30addBiasResidualPostLayerNormV2I14__hip_bfloat16Li32EEvPT_PKS1_S4_S4_S4_fi
	.p2align	8
	.type	_Z30addBiasResidualPostLayerNormV2I14__hip_bfloat16Li32EEvPT_PKS1_S4_S4_S4_fi,@function
_Z30addBiasResidualPostLayerNormV2I14__hip_bfloat16Li32EEvPT_PKS1_S4_S4_S4_fi: ; @_Z30addBiasResidualPostLayerNormV2I14__hip_bfloat16Li32EEvPT_PKS1_S4_S4_S4_fi
; %bb.0:
	s_load_dwordx2 s[8:9], s[4:5], 0x28
	s_load_dwordx4 s[0:3], s[4:5], 0x0
	s_load_dwordx2 s[10:11], s[4:5], 0x10
	s_waitcnt lgkmcnt(0)
	s_mul_i32 s6, s6, s9
	s_lshr_b32 s7, s6, 31
	s_add_i32 s6, s6, s7
	s_ashr_i32 s6, s6, 1
	v_add_u32_e32 v4, s6, v0
	v_ashrrev_i32_e32 v5, 31, v4
	v_lshlrev_b64 v[6:7], 2, v[4:5]
	v_mov_b32_e32 v1, s1
	v_add_co_u32_e32 v2, vcc, s0, v6
	v_addc_co_u32_e32 v3, vcc, v1, v7, vcc
	v_mov_b32_e32 v1, s3
	v_add_co_u32_e32 v6, vcc, s2, v6
	v_addc_co_u32_e32 v7, vcc, v1, v7, vcc
	global_load_dword v10, v[6:7], off
	global_load_dword v9, v[2:3], off
	v_lshlrev_b32_e32 v1, 2, v0
	global_load_dword v5, v1, s[10:11]
	s_mov_b32 s6, 0x7f800000
	s_waitcnt vmcnt(2)
	v_lshlrev_b32_e32 v6, 16, v10
	s_waitcnt vmcnt(1)
	v_lshlrev_b32_e32 v8, 16, v9
	v_pk_add_f32 v[6:7], v[6:7], v[8:9] op_sel_hi:[0,1]
	v_and_b32_e32 v7, 0x7f800000, v6
	v_cmp_ne_u32_e32 vcc, s6, v7
                                        ; implicit-def: $vgpr8
	s_and_saveexec_b64 s[6:7], vcc
	s_xor_b64 s[6:7], exec, s[6:7]
; %bb.1:
	v_bfe_u32 v7, v6, 16, 1
	s_movk_i32 s12, 0x7fff
	v_add3_u32 v8, v6, v7, s12
                                        ; implicit-def: $vgpr6_vgpr7
; %bb.2:
	s_andn2_saveexec_b64 s[6:7], s[6:7]
; %bb.3:
	v_mov_b32_e32 v7, 0
	v_or_b32_e32 v8, 0x10000, v6
	v_cmp_eq_u32_sdwa vcc, v6, v7 src0_sel:WORD_0 src1_sel:DWORD
	v_cndmask_b32_e32 v8, v8, v6, vcc
; %bb.4:
	s_or_b64 exec, exec, s[6:7]
	v_and_b32_e32 v6, 0xffff0000, v10
	v_and_b32_e32 v10, 0xffff0000, v9
	v_pk_add_f32 v[6:7], v[6:7], v[10:11] op_sel_hi:[0,1]
	s_mov_b32 s6, 0x7f800000
	v_and_b32_e32 v7, 0x7f800000, v6
	v_cmp_ne_u32_e32 vcc, s6, v7
                                        ; implicit-def: $vgpr9
	s_and_saveexec_b64 s[6:7], vcc
	s_xor_b64 s[6:7], exec, s[6:7]
; %bb.5:
	v_bfe_u32 v7, v6, 16, 1
	s_movk_i32 s12, 0x7fff
	v_add3_u32 v9, v6, v7, s12
                                        ; implicit-def: $vgpr6_vgpr7
; %bb.6:
	s_andn2_saveexec_b64 s[6:7], s[6:7]
; %bb.7:
	v_mov_b32_e32 v7, 0
	v_or_b32_e32 v9, 0x10000, v6
	v_cmp_eq_u32_sdwa vcc, v6, v7 src0_sel:WORD_0 src1_sel:DWORD
	v_cndmask_b32_e32 v9, v9, v6, vcc
; %bb.8:
	s_or_b64 exec, exec, s[6:7]
	v_and_b32_e32 v6, 0xffff0000, v8
	s_waitcnt vmcnt(0)
	v_lshlrev_b32_e32 v7, 16, v5
	v_add_f32_e32 v7, v7, v6
	s_mov_b32 s6, 0x7f800000
	v_and_b32_e32 v6, 0x7f800000, v7
	v_cmp_ne_u32_e32 vcc, s6, v6
                                        ; implicit-def: $vgpr6
	s_and_saveexec_b64 s[6:7], vcc
	s_xor_b64 s[6:7], exec, s[6:7]
; %bb.9:
	v_bfe_u32 v6, v7, 16, 1
	s_movk_i32 s12, 0x7fff
	v_add3_u32 v6, v7, v6, s12
                                        ; implicit-def: $vgpr7
; %bb.10:
	s_andn2_saveexec_b64 s[6:7], s[6:7]
; %bb.11:
	v_mov_b32_e32 v6, 0
	v_or_b32_e32 v8, 0x10000, v7
	v_cmp_eq_u32_sdwa vcc, v7, v6 src0_sel:WORD_0 src1_sel:DWORD
	v_cndmask_b32_e32 v6, v8, v7, vcc
; %bb.12:
	s_or_b64 exec, exec, s[6:7]
	v_and_b32_e32 v7, 0xffff0000, v9
	v_and_b32_e32 v5, 0xffff0000, v5
	v_add_f32_e32 v7, v5, v7
	s_mov_b32 s6, 0x7f800000
	v_and_b32_e32 v5, 0x7f800000, v7
	v_cmp_ne_u32_e32 vcc, s6, v5
                                        ; implicit-def: $vgpr5
	s_and_saveexec_b64 s[6:7], vcc
	s_xor_b64 s[6:7], exec, s[6:7]
; %bb.13:
	v_bfe_u32 v5, v7, 16, 1
	s_movk_i32 s12, 0x7fff
	v_add3_u32 v5, v7, v5, s12
                                        ; implicit-def: $vgpr7
; %bb.14:
	s_andn2_saveexec_b64 s[6:7], s[6:7]
; %bb.15:
	v_mov_b32_e32 v5, 0
	v_or_b32_e32 v8, 0x10000, v7
	v_cmp_eq_u32_sdwa vcc, v7, v5 src0_sel:WORD_0 src1_sel:DWORD
	v_cndmask_b32_e32 v5, v8, v7, vcc
; %bb.16:
	s_or_b64 exec, exec, s[6:7]
	v_and_b32_e32 v14, 0xffff0000, v6
	v_add_f32_e32 v6, 0, v14
	s_mov_b32 s6, 0x7f800000
	v_and_b32_e32 v7, 0x7f800000, v6
	v_cmp_ne_u32_e32 vcc, s6, v7
                                        ; implicit-def: $vgpr12
	s_and_saveexec_b64 s[6:7], vcc
	s_xor_b64 s[6:7], exec, s[6:7]
; %bb.17:
	v_bfe_u32 v7, v6, 16, 1
	s_movk_i32 s12, 0x7fff
	v_add3_u32 v12, v6, v7, s12
                                        ; implicit-def: $vgpr6
; %bb.18:
	s_or_saveexec_b64 s[6:7], s[6:7]
	v_mov_b32_e32 v7, s11
	s_xor_b64 exec, exec, s[6:7]
; %bb.19:
	v_mov_b32_e32 v8, 0
	v_or_b32_e32 v9, 0x10000, v6
	v_cmp_eq_u32_sdwa vcc, v6, v8 src0_sel:WORD_0 src1_sel:DWORD
	v_cndmask_b32_e32 v12, v9, v6, vcc
; %bb.20:
	s_or_b64 exec, exec, s[6:7]
	v_and_b32_e32 v15, 0xffff0000, v5
	v_add_co_u32_e32 v8, vcc, s10, v1
	v_add_f32_e32 v5, 0, v15
	v_addc_co_u32_e32 v9, vcc, 0, v7, vcc
	s_mov_b32 s6, 0x7f800000
	v_and_b32_e32 v6, 0x7f800000, v5
	v_cmp_ne_u32_e32 vcc, s6, v6
                                        ; implicit-def: $vgpr13
	s_and_saveexec_b64 s[6:7], vcc
	s_xor_b64 s[6:7], exec, s[6:7]
; %bb.21:
	v_bfe_u32 v6, v5, 16, 1
	s_movk_i32 s10, 0x7fff
	v_add3_u32 v13, v5, v6, s10
                                        ; implicit-def: $vgpr5
; %bb.22:
	s_or_saveexec_b64 s[6:7], s[6:7]
	s_load_dword s10, s[4:5], 0x3c
	s_xor_b64 exec, exec, s[6:7]
; %bb.23:
	v_mov_b32_e32 v6, 0
	v_or_b32_e32 v7, 0x10000, v5
	v_cmp_eq_u32_sdwa vcc, v5, v6 src0_sel:WORD_0 src1_sel:DWORD
	v_cndmask_b32_e32 v13, v7, v5, vcc
; %bb.24:
	s_or_b64 exec, exec, s[6:7]
	s_waitcnt lgkmcnt(0)
	s_and_b32 s10, 0xffff, s10
	v_add_u32_e32 v6, s10, v4
	v_ashrrev_i32_e32 v7, 31, v6
	v_lshlrev_b64 v[10:11], 2, v[6:7]
	v_mov_b32_e32 v5, s1
	v_add_co_u32_e32 v4, vcc, s0, v10
	v_addc_co_u32_e32 v5, vcc, v5, v11, vcc
	v_mov_b32_e32 v7, s3
	v_add_co_u32_e32 v10, vcc, s2, v10
	v_addc_co_u32_e32 v11, vcc, v7, v11, vcc
	global_load_dword v17, v[4:5], off
	global_load_dword v18, v[10:11], off
	s_lshl_b32 s6, s10, 2
	v_add_co_u32_e32 v8, vcc, s6, v8
	v_addc_co_u32_e32 v9, vcc, 0, v9, vcc
	global_load_dword v7, v[8:9], off
	s_mov_b32 s6, 0x7f800000
	s_waitcnt vmcnt(2)
	v_lshlrev_b32_e32 v16, 16, v17
	s_waitcnt vmcnt(1)
	v_lshlrev_b32_e32 v10, 16, v18
	v_pk_add_f32 v[10:11], v[10:11], v[16:17] op_sel_hi:[0,1]
	v_and_b32_e32 v11, 0x7f800000, v10
	v_cmp_ne_u32_e32 vcc, s6, v11
                                        ; implicit-def: $vgpr16
	s_and_saveexec_b64 s[6:7], vcc
	s_xor_b64 s[6:7], exec, s[6:7]
; %bb.25:
	v_bfe_u32 v11, v10, 16, 1
	s_movk_i32 s11, 0x7fff
	v_add3_u32 v16, v10, v11, s11
                                        ; implicit-def: $vgpr10_vgpr11
; %bb.26:
	s_andn2_saveexec_b64 s[6:7], s[6:7]
; %bb.27:
	v_mov_b32_e32 v11, 0
	v_or_b32_e32 v16, 0x10000, v10
	v_cmp_eq_u32_sdwa vcc, v10, v11 src0_sel:WORD_0 src1_sel:DWORD
	v_cndmask_b32_e32 v16, v16, v10, vcc
; %bb.28:
	s_or_b64 exec, exec, s[6:7]
	v_and_b32_e32 v10, 0xffff0000, v18
	v_and_b32_e32 v18, 0xffff0000, v17
	v_pk_add_f32 v[10:11], v[10:11], v[18:19] op_sel_hi:[0,1]
	s_mov_b32 s6, 0x7f800000
	v_and_b32_e32 v11, 0x7f800000, v10
	v_cmp_ne_u32_e32 vcc, s6, v11
                                        ; implicit-def: $vgpr17
	s_and_saveexec_b64 s[6:7], vcc
	s_xor_b64 s[6:7], exec, s[6:7]
; %bb.29:
	v_bfe_u32 v11, v10, 16, 1
	s_movk_i32 s11, 0x7fff
	v_add3_u32 v17, v10, v11, s11
                                        ; implicit-def: $vgpr10_vgpr11
; %bb.30:
	s_andn2_saveexec_b64 s[6:7], s[6:7]
; %bb.31:
	v_mov_b32_e32 v11, 0
	v_or_b32_e32 v17, 0x10000, v10
	v_cmp_eq_u32_sdwa vcc, v10, v11 src0_sel:WORD_0 src1_sel:DWORD
	v_cndmask_b32_e32 v17, v17, v10, vcc
; %bb.32:
	s_or_b64 exec, exec, s[6:7]
	v_and_b32_e32 v10, 0xffff0000, v16
	s_waitcnt vmcnt(0)
	v_lshlrev_b32_e32 v11, 16, v7
	v_add_f32_e32 v11, v11, v10
	s_mov_b32 s6, 0x7f800000
	v_and_b32_e32 v10, 0x7f800000, v11
	v_cmp_ne_u32_e32 vcc, s6, v10
                                        ; implicit-def: $vgpr10
	s_and_saveexec_b64 s[6:7], vcc
	s_xor_b64 s[6:7], exec, s[6:7]
; %bb.33:
	v_bfe_u32 v10, v11, 16, 1
	s_movk_i32 s11, 0x7fff
	v_add3_u32 v10, v11, v10, s11
                                        ; implicit-def: $vgpr11
; %bb.34:
	s_andn2_saveexec_b64 s[6:7], s[6:7]
; %bb.35:
	v_mov_b32_e32 v10, 0
	v_or_b32_e32 v16, 0x10000, v11
	v_cmp_eq_u32_sdwa vcc, v11, v10 src0_sel:WORD_0 src1_sel:DWORD
	v_cndmask_b32_e32 v10, v16, v11, vcc
; %bb.36:
	s_or_b64 exec, exec, s[6:7]
	v_and_b32_e32 v11, 0xffff0000, v17
	v_and_b32_e32 v7, 0xffff0000, v7
	v_add_f32_e32 v11, v7, v11
	s_mov_b32 s6, 0x7f800000
	v_and_b32_e32 v7, 0x7f800000, v11
	v_cmp_ne_u32_e32 vcc, s6, v7
                                        ; implicit-def: $vgpr7
	s_and_saveexec_b64 s[6:7], vcc
	s_xor_b64 s[6:7], exec, s[6:7]
; %bb.37:
	v_bfe_u32 v7, v11, 16, 1
	s_movk_i32 s11, 0x7fff
	v_add3_u32 v7, v11, v7, s11
                                        ; implicit-def: $vgpr11
; %bb.38:
	s_andn2_saveexec_b64 s[6:7], s[6:7]
; %bb.39:
	v_mov_b32_e32 v7, 0
	v_or_b32_e32 v16, 0x10000, v11
	v_cmp_eq_u32_sdwa vcc, v11, v7 src0_sel:WORD_0 src1_sel:DWORD
	v_cndmask_b32_e32 v7, v16, v11, vcc
; %bb.40:
	s_or_b64 exec, exec, s[6:7]
	v_and_b32_e32 v11, 0xffff0000, v12
	v_and_b32_e32 v16, 0xffff0000, v10
	v_add_f32_e32 v10, v11, v16
	s_mov_b32 s6, 0x7f800000
	v_and_b32_e32 v11, 0x7f800000, v10
	v_cmp_ne_u32_e32 vcc, s6, v11
                                        ; implicit-def: $vgpr18
	s_and_saveexec_b64 s[6:7], vcc
	s_xor_b64 s[6:7], exec, s[6:7]
; %bb.41:
	v_bfe_u32 v11, v10, 16, 1
	s_movk_i32 s11, 0x7fff
	v_add3_u32 v18, v10, v11, s11
                                        ; implicit-def: $vgpr10
; %bb.42:
	s_andn2_saveexec_b64 s[6:7], s[6:7]
; %bb.43:
	v_mov_b32_e32 v11, 0
	v_or_b32_e32 v12, 0x10000, v10
	v_cmp_eq_u32_sdwa vcc, v10, v11 src0_sel:WORD_0 src1_sel:DWORD
	v_cndmask_b32_e32 v18, v12, v10, vcc
; %bb.44:
	s_or_b64 exec, exec, s[6:7]
	v_and_b32_e32 v17, 0xffff0000, v7
	v_and_b32_e32 v7, 0xffff0000, v13
	v_add_f32_e32 v7, v7, v17
	s_mov_b32 s6, 0x7f800000
	v_and_b32_e32 v10, 0x7f800000, v7
	v_cmp_ne_u32_e32 vcc, s6, v10
                                        ; implicit-def: $vgpr19
	s_and_saveexec_b64 s[6:7], vcc
	s_xor_b64 s[6:7], exec, s[6:7]
; %bb.45:
	v_bfe_u32 v10, v7, 16, 1
	s_movk_i32 s11, 0x7fff
	v_add3_u32 v19, v7, v10, s11
                                        ; implicit-def: $vgpr7
; %bb.46:
	s_andn2_saveexec_b64 s[6:7], s[6:7]
; %bb.47:
	v_mov_b32_e32 v10, 0
	v_or_b32_e32 v11, 0x10000, v7
	v_cmp_eq_u32_sdwa vcc, v7, v10 src0_sel:WORD_0 src1_sel:DWORD
	v_cndmask_b32_e32 v19, v11, v7, vcc
; %bb.48:
	s_or_b64 exec, exec, s[6:7]
	v_add_u32_e32 v12, s10, v6
	v_ashrrev_i32_e32 v13, 31, v12
	v_lshlrev_b64 v[10:11], 2, v[12:13]
	v_mov_b32_e32 v7, s1
	v_add_co_u32_e32 v6, vcc, s0, v10
	v_addc_co_u32_e32 v7, vcc, v7, v11, vcc
	v_mov_b32_e32 v13, s3
	v_add_co_u32_e32 v10, vcc, s2, v10
	v_addc_co_u32_e32 v11, vcc, v13, v11, vcc
	global_load_dword v21, v[6:7], off
	global_load_dword v22, v[10:11], off
	s_lshl_b32 s14, s10, 2
	v_add_co_u32_e32 v10, vcc, s14, v8
	v_addc_co_u32_e32 v11, vcc, 0, v9, vcc
	global_load_dword v13, v[10:11], off
	s_mov_b32 s6, 0x7f800000
	s_waitcnt vmcnt(2)
	v_lshlrev_b32_e32 v20, 16, v21
	s_waitcnt vmcnt(1)
	v_lshlrev_b32_e32 v8, 16, v22
	v_pk_add_f32 v[8:9], v[8:9], v[20:21] op_sel_hi:[0,1]
	v_and_b32_e32 v9, 0x7f800000, v8
	v_cmp_ne_u32_e32 vcc, s6, v9
                                        ; implicit-def: $vgpr20
	s_and_saveexec_b64 s[6:7], vcc
	s_xor_b64 s[6:7], exec, s[6:7]
; %bb.49:
	v_bfe_u32 v9, v8, 16, 1
	s_movk_i32 s11, 0x7fff
	v_add3_u32 v20, v8, v9, s11
                                        ; implicit-def: $vgpr8_vgpr9
; %bb.50:
	s_andn2_saveexec_b64 s[6:7], s[6:7]
; %bb.51:
	v_mov_b32_e32 v9, 0
	v_or_b32_e32 v20, 0x10000, v8
	v_cmp_eq_u32_sdwa vcc, v8, v9 src0_sel:WORD_0 src1_sel:DWORD
	v_cndmask_b32_e32 v20, v20, v8, vcc
; %bb.52:
	s_or_b64 exec, exec, s[6:7]
	v_and_b32_e32 v8, 0xffff0000, v22
	v_and_b32_e32 v22, 0xffff0000, v21
	v_pk_add_f32 v[8:9], v[8:9], v[22:23] op_sel_hi:[0,1]
	s_mov_b32 s6, 0x7f800000
	v_and_b32_e32 v9, 0x7f800000, v8
	v_cmp_ne_u32_e32 vcc, s6, v9
                                        ; implicit-def: $vgpr21
	s_and_saveexec_b64 s[6:7], vcc
	s_xor_b64 s[6:7], exec, s[6:7]
; %bb.53:
	v_bfe_u32 v9, v8, 16, 1
	s_movk_i32 s11, 0x7fff
	v_add3_u32 v21, v8, v9, s11
                                        ; implicit-def: $vgpr8_vgpr9
; %bb.54:
	s_andn2_saveexec_b64 s[6:7], s[6:7]
; %bb.55:
	v_mov_b32_e32 v9, 0
	v_or_b32_e32 v21, 0x10000, v8
	v_cmp_eq_u32_sdwa vcc, v8, v9 src0_sel:WORD_0 src1_sel:DWORD
	v_cndmask_b32_e32 v21, v21, v8, vcc
; %bb.56:
	s_or_b64 exec, exec, s[6:7]
	v_and_b32_e32 v8, 0xffff0000, v20
	s_waitcnt vmcnt(0)
	v_lshlrev_b32_e32 v9, 16, v13
	v_add_f32_e32 v9, v9, v8
	s_mov_b32 s6, 0x7f800000
	v_and_b32_e32 v8, 0x7f800000, v9
	v_cmp_ne_u32_e32 vcc, s6, v8
                                        ; implicit-def: $vgpr8
	s_and_saveexec_b64 s[6:7], vcc
	s_xor_b64 s[6:7], exec, s[6:7]
; %bb.57:
	v_bfe_u32 v8, v9, 16, 1
	s_movk_i32 s11, 0x7fff
	v_add3_u32 v8, v9, v8, s11
                                        ; implicit-def: $vgpr9
; %bb.58:
	s_andn2_saveexec_b64 s[6:7], s[6:7]
; %bb.59:
	v_mov_b32_e32 v8, 0
	v_or_b32_e32 v20, 0x10000, v9
	v_cmp_eq_u32_sdwa vcc, v9, v8 src0_sel:WORD_0 src1_sel:DWORD
	v_cndmask_b32_e32 v8, v20, v9, vcc
; %bb.60:
	s_or_b64 exec, exec, s[6:7]
	v_and_b32_e32 v9, 0xffff0000, v21
	v_and_b32_e32 v13, 0xffff0000, v13
	v_add_f32_e32 v13, v13, v9
	s_mov_b32 s6, 0x7f800000
	v_and_b32_e32 v9, 0x7f800000, v13
	v_cmp_ne_u32_e32 vcc, s6, v9
                                        ; implicit-def: $vgpr9
	s_and_saveexec_b64 s[6:7], vcc
	s_xor_b64 s[6:7], exec, s[6:7]
; %bb.61:
	v_bfe_u32 v9, v13, 16, 1
	s_movk_i32 s11, 0x7fff
	v_add3_u32 v9, v13, v9, s11
                                        ; implicit-def: $vgpr13
; %bb.62:
	s_andn2_saveexec_b64 s[6:7], s[6:7]
; %bb.63:
	v_mov_b32_e32 v9, 0
	v_or_b32_e32 v20, 0x10000, v13
	v_cmp_eq_u32_sdwa vcc, v13, v9 src0_sel:WORD_0 src1_sel:DWORD
	v_cndmask_b32_e32 v9, v20, v13, vcc
; %bb.64:
	s_or_b64 exec, exec, s[6:7]
	v_and_b32_e32 v18, 0xffff0000, v18
	v_and_b32_e32 v13, 0xffff0000, v8
	v_add_f32_e32 v8, v18, v13
	s_mov_b32 s6, 0x7f800000
	v_and_b32_e32 v18, 0x7f800000, v8
	v_cmp_ne_u32_e32 vcc, s6, v18
                                        ; implicit-def: $vgpr21
	s_and_saveexec_b64 s[6:7], vcc
	s_xor_b64 s[6:7], exec, s[6:7]
; %bb.65:
	v_bfe_u32 v18, v8, 16, 1
	s_movk_i32 s11, 0x7fff
	v_add3_u32 v21, v8, v18, s11
                                        ; implicit-def: $vgpr8
; %bb.66:
	s_andn2_saveexec_b64 s[6:7], s[6:7]
; %bb.67:
	v_mov_b32_e32 v18, 0
	v_or_b32_e32 v20, 0x10000, v8
	v_cmp_eq_u32_sdwa vcc, v8, v18 src0_sel:WORD_0 src1_sel:DWORD
	v_cndmask_b32_e32 v21, v20, v8, vcc
; %bb.68:
	s_or_b64 exec, exec, s[6:7]
	v_and_b32_e32 v18, 0xffff0000, v9
	v_and_b32_e32 v8, 0xffff0000, v19
	v_add_f32_e32 v8, v8, v18
	s_mov_b32 s6, 0x7f800000
	v_and_b32_e32 v9, 0x7f800000, v8
	v_cmp_ne_u32_e32 vcc, s6, v9
                                        ; implicit-def: $vgpr20
	s_and_saveexec_b64 s[6:7], vcc
	s_xor_b64 s[6:7], exec, s[6:7]
; %bb.69:
	v_bfe_u32 v9, v8, 16, 1
	s_movk_i32 s11, 0x7fff
	v_add3_u32 v20, v8, v9, s11
                                        ; implicit-def: $vgpr8
; %bb.70:
	s_andn2_saveexec_b64 s[6:7], s[6:7]
; %bb.71:
	v_mov_b32_e32 v9, 0
	v_or_b32_e32 v19, 0x10000, v8
	v_cmp_eq_u32_sdwa vcc, v8, v9 src0_sel:WORD_0 src1_sel:DWORD
	v_cndmask_b32_e32 v20, v19, v8, vcc
; %bb.72:
	s_or_b64 exec, exec, s[6:7]
	v_add_u32_e32 v8, s10, v12
	v_ashrrev_i32_e32 v9, 31, v8
	v_lshlrev_b64 v[22:23], 2, v[8:9]
	v_mov_b32_e32 v9, s1
	v_add_co_u32_e32 v8, vcc, s0, v22
	v_addc_co_u32_e32 v9, vcc, v9, v23, vcc
	v_mov_b32_e32 v12, s3
	v_add_co_u32_e32 v24, vcc, s2, v22
	v_addc_co_u32_e32 v25, vcc, v12, v23, vcc
	global_load_dword v23, v[24:25], off
	global_load_dword v22, v[8:9], off
	v_add_co_u32_e32 v10, vcc, s14, v10
	v_addc_co_u32_e32 v11, vcc, 0, v11, vcc
	global_load_dword v12, v[10:11], off
	s_mov_b32 s0, 0x7f800000
                                        ; implicit-def: $vgpr19
	s_waitcnt vmcnt(2)
	v_lshlrev_b32_e32 v10, 16, v23
	s_waitcnt vmcnt(1)
	v_lshlrev_b32_e32 v24, 16, v22
	v_pk_add_f32 v[10:11], v[10:11], v[24:25] op_sel_hi:[0,1]
	v_and_b32_e32 v11, 0x7f800000, v10
	v_cmp_ne_u32_e32 vcc, s0, v11
	s_and_saveexec_b64 s[0:1], vcc
	s_xor_b64 s[0:1], exec, s[0:1]
; %bb.73:
	v_bfe_u32 v11, v10, 16, 1
	s_movk_i32 s2, 0x7fff
	v_add3_u32 v19, v10, v11, s2
                                        ; implicit-def: $vgpr10_vgpr11
; %bb.74:
	s_andn2_saveexec_b64 s[0:1], s[0:1]
; %bb.75:
	v_mov_b32_e32 v11, 0
	v_or_b32_e32 v19, 0x10000, v10
	v_cmp_eq_u32_sdwa vcc, v10, v11 src0_sel:WORD_0 src1_sel:DWORD
	v_cndmask_b32_e32 v19, v19, v10, vcc
; %bb.76:
	s_or_b64 exec, exec, s[0:1]
	v_and_b32_e32 v10, 0xffff0000, v23
	v_and_b32_e32 v22, 0xffff0000, v22
	v_pk_add_f32 v[10:11], v[10:11], v[22:23] op_sel_hi:[0,1]
	s_mov_b32 s0, 0x7f800000
	v_and_b32_e32 v11, 0x7f800000, v10
	v_cmp_ne_u32_e32 vcc, s0, v11
                                        ; implicit-def: $vgpr22
	s_and_saveexec_b64 s[0:1], vcc
	s_xor_b64 s[0:1], exec, s[0:1]
; %bb.77:
	v_bfe_u32 v11, v10, 16, 1
	s_movk_i32 s2, 0x7fff
	v_add3_u32 v22, v10, v11, s2
                                        ; implicit-def: $vgpr10_vgpr11
; %bb.78:
	s_andn2_saveexec_b64 s[0:1], s[0:1]
; %bb.79:
	v_mov_b32_e32 v11, 0
	v_or_b32_e32 v22, 0x10000, v10
	v_cmp_eq_u32_sdwa vcc, v10, v11 src0_sel:WORD_0 src1_sel:DWORD
	v_cndmask_b32_e32 v22, v22, v10, vcc
; %bb.80:
	s_or_b64 exec, exec, s[0:1]
	v_and_b32_e32 v10, 0xffff0000, v19
	s_waitcnt vmcnt(0)
	v_lshlrev_b32_e32 v11, 16, v12
	v_add_f32_e32 v11, v11, v10
	s_mov_b32 s0, 0x7f800000
	v_and_b32_e32 v10, 0x7f800000, v11
	v_cmp_ne_u32_e32 vcc, s0, v10
                                        ; implicit-def: $vgpr10
	s_and_saveexec_b64 s[0:1], vcc
	s_xor_b64 s[0:1], exec, s[0:1]
; %bb.81:
	v_bfe_u32 v10, v11, 16, 1
	s_movk_i32 s2, 0x7fff
	v_add3_u32 v10, v11, v10, s2
                                        ; implicit-def: $vgpr11
; %bb.82:
	s_andn2_saveexec_b64 s[0:1], s[0:1]
; %bb.83:
	v_mov_b32_e32 v10, 0
	v_or_b32_e32 v19, 0x10000, v11
	v_cmp_eq_u32_sdwa vcc, v11, v10 src0_sel:WORD_0 src1_sel:DWORD
	v_cndmask_b32_e32 v10, v19, v11, vcc
; %bb.84:
	s_or_b64 exec, exec, s[0:1]
	v_and_b32_e32 v11, 0xffff0000, v22
	v_and_b32_e32 v12, 0xffff0000, v12
	v_add_f32_e32 v12, v12, v11
	s_mov_b32 s0, 0x7f800000
	v_and_b32_e32 v11, 0x7f800000, v12
	v_cmp_ne_u32_e32 vcc, s0, v11
                                        ; implicit-def: $vgpr11
	s_and_saveexec_b64 s[0:1], vcc
	s_xor_b64 s[0:1], exec, s[0:1]
; %bb.85:
	v_bfe_u32 v11, v12, 16, 1
	s_movk_i32 s2, 0x7fff
	v_add3_u32 v11, v12, v11, s2
                                        ; implicit-def: $vgpr12
; %bb.86:
	s_andn2_saveexec_b64 s[0:1], s[0:1]
; %bb.87:
	v_mov_b32_e32 v11, 0
	v_or_b32_e32 v19, 0x10000, v12
	v_cmp_eq_u32_sdwa vcc, v12, v11 src0_sel:WORD_0 src1_sel:DWORD
	v_cndmask_b32_e32 v11, v19, v12, vcc
; %bb.88:
	s_or_b64 exec, exec, s[0:1]
	v_and_b32_e32 v19, 0xffff0000, v21
	v_and_b32_e32 v12, 0xffff0000, v10
	v_add_f32_e32 v19, v19, v12
	s_mov_b32 s0, 0x7f800000
	v_and_b32_e32 v10, 0x7f800000, v19
	v_cmp_ne_u32_e32 vcc, s0, v10
                                        ; implicit-def: $vgpr10
	s_and_saveexec_b64 s[0:1], vcc
	s_xor_b64 s[0:1], exec, s[0:1]
; %bb.89:
	v_bfe_u32 v10, v19, 16, 1
	s_movk_i32 s2, 0x7fff
	v_add3_u32 v10, v19, v10, s2
                                        ; implicit-def: $vgpr19
; %bb.90:
	s_andn2_saveexec_b64 s[0:1], s[0:1]
; %bb.91:
	v_mov_b32_e32 v10, 0
	v_or_b32_e32 v21, 0x10000, v19
	v_cmp_eq_u32_sdwa vcc, v19, v10 src0_sel:WORD_0 src1_sel:DWORD
	v_cndmask_b32_e32 v10, v21, v19, vcc
; %bb.92:
	s_or_b64 exec, exec, s[0:1]
	v_and_b32_e32 v19, 0xffff0000, v11
	v_and_b32_e32 v11, 0xffff0000, v20
	v_add_f32_e32 v11, v11, v19
	s_mov_b32 s0, 0x7f800000
	v_and_b32_e32 v20, 0x7f800000, v11
	v_cmp_ne_u32_e32 vcc, s0, v20
                                        ; implicit-def: $vgpr20
	s_and_saveexec_b64 s[0:1], vcc
	s_xor_b64 s[0:1], exec, s[0:1]
; %bb.93:
	v_bfe_u32 v20, v11, 16, 1
	s_movk_i32 s2, 0x7fff
	v_add3_u32 v20, v11, v20, s2
                                        ; implicit-def: $vgpr11
; %bb.94:
	s_andn2_saveexec_b64 s[0:1], s[0:1]
; %bb.95:
	v_mov_b32_e32 v20, 0
	v_or_b32_e32 v21, 0x10000, v11
	v_cmp_eq_u32_sdwa vcc, v11, v20 src0_sel:WORD_0 src1_sel:DWORD
	v_cndmask_b32_e32 v20, v21, v11, vcc
; %bb.96:
	s_or_b64 exec, exec, s[0:1]
	v_and_b32_e32 v20, 0xffff0000, v20
	v_and_b32_e32 v10, 0xffff0000, v10
	v_pk_add_f32 v[10:11], v[20:21], v[10:11] op_sel_hi:[0,1]
	s_mov_b32 s0, 0x7f800000
	v_and_b32_e32 v11, 0x7f800000, v10
	v_cmp_ne_u32_e32 vcc, s0, v11
                                        ; implicit-def: $vgpr20
	s_and_saveexec_b64 s[0:1], vcc
	s_xor_b64 s[0:1], exec, s[0:1]
; %bb.97:
	v_bfe_u32 v11, v10, 16, 1
	s_movk_i32 s2, 0x7fff
	v_add3_u32 v20, v10, v11, s2
                                        ; implicit-def: $vgpr10_vgpr11
; %bb.98:
	s_andn2_saveexec_b64 s[0:1], s[0:1]
; %bb.99:
	v_mov_b32_e32 v11, 0
	v_or_b32_e32 v20, 0x10000, v10
	v_cmp_eq_u32_sdwa vcc, v10, v11 src0_sel:WORD_0 src1_sel:DWORD
	v_cndmask_b32_e32 v20, v20, v10, vcc
; %bb.100:
	s_or_b64 exec, exec, s[0:1]
	v_mbcnt_lo_u32_b32 v10, -1, 0
	v_mbcnt_hi_u32_b32 v22, -1, v10
	v_and_b32_e32 v10, 0x60, v22
	v_add_u32_e32 v23, 32, v10
	v_xor_b32_e32 v10, 16, v22
	v_cmp_lt_i32_e32 vcc, v10, v23
	v_cndmask_b32_e32 v10, v22, v10, vcc
	v_and_b32_e32 v11, 0xffff0000, v20
	v_lshlrev_b32_e32 v10, 2, v10
	ds_bpermute_b32 v20, v10, v11
	v_xor_b32_e32 v21, 8, v22
	v_cmp_lt_i32_e32 vcc, v21, v23
	v_xor_b32_e32 v24, 4, v22
	v_xor_b32_e32 v25, 2, v22
	s_waitcnt lgkmcnt(0)
	v_add_f32_e32 v20, v11, v20
	v_cndmask_b32_e32 v11, v22, v21, vcc
	v_lshlrev_b32_e32 v11, 2, v11
	ds_bpermute_b32 v21, v11, v20
	v_cmp_lt_i32_e32 vcc, v24, v23
	v_xor_b32_e32 v26, 1, v22
	s_waitcnt lgkmcnt(0)
	v_add_f32_e32 v21, v20, v21
	v_cndmask_b32_e32 v20, v22, v24, vcc
	v_lshlrev_b32_e32 v20, 2, v20
	ds_bpermute_b32 v24, v20, v21
	v_cmp_lt_i32_e32 vcc, v25, v23
	s_waitcnt lgkmcnt(0)
	v_add_f32_e32 v24, v21, v24
	v_cndmask_b32_e32 v21, v22, v25, vcc
	v_lshlrev_b32_e32 v21, 2, v21
	ds_bpermute_b32 v25, v21, v24
	v_cmp_lt_i32_e32 vcc, v26, v23
	v_cndmask_b32_e32 v22, v22, v26, vcc
	v_lshlrev_b32_e32 v22, 2, v22
	v_and_b32_e32 v23, 31, v0
	s_waitcnt lgkmcnt(0)
	v_add_f32_e32 v25, v24, v25
	ds_bpermute_b32 v26, v22, v25
	v_cmp_eq_u32_e64 s[0:1], 0, v23
	v_lshrrev_b32_e32 v24, 3, v0
	s_and_saveexec_b64 s[2:3], s[0:1]
	s_cbranch_execz .LBB17_102
; %bb.101:
	s_waitcnt lgkmcnt(0)
	v_add_f32_e32 v25, v25, v26
	ds_write_b32 v24, v25
.LBB17_102:
	s_or_b64 exec, exec, s[2:3]
	s_lshr_b32 s2, s10, 5
	v_cmp_gt_u32_e64 s[2:3], s2, v0
	s_waitcnt lgkmcnt(0)
	v_mov_b32_e32 v26, 0
	v_lshlrev_b32_e32 v25, 2, v23
	s_barrier
	s_and_saveexec_b64 s[6:7], s[2:3]
	s_cbranch_execz .LBB17_104
; %bb.103:
	ds_read_b32 v26, v25
.LBB17_104:
	s_or_b64 exec, exec, s[6:7]
	s_waitcnt lgkmcnt(0)
	ds_bpermute_b32 v23, v10, v26
	v_cmp_eq_u32_e64 s[6:7], 0, v0
	s_waitcnt lgkmcnt(0)
	v_add_f32_e32 v23, v26, v23
	ds_bpermute_b32 v26, v11, v23
	s_waitcnt lgkmcnt(0)
	v_add_f32_e32 v23, v23, v26
	ds_bpermute_b32 v26, v20, v23
	;; [unrolled: 3-line block ×4, first 2 shown]
	v_cvt_f32_i32_e32 v23, s9
	s_and_saveexec_b64 s[10:11], s[6:7]
	s_cbranch_execz .LBB17_106
; %bb.105:
	s_waitcnt lgkmcnt(0)
	v_add_f32_e32 v0, v26, v27
	v_div_scale_f32 v26, s[12:13], v23, v23, v0
	v_rcp_f32_e32 v27, v26
	v_div_scale_f32 v28, vcc, v0, v23, v0
	v_fma_f32 v29, -v26, v27, 1.0
	v_fmac_f32_e32 v27, v29, v27
	v_mul_f32_e32 v29, v28, v27
	v_fma_f32 v30, -v26, v29, v28
	v_fmac_f32_e32 v29, v30, v27
	v_fma_f32 v26, -v26, v29, v28
	v_div_fmas_f32 v26, v26, v27, v29
	v_div_fixup_f32 v0, v26, v23, v0
	v_mov_b32_e32 v26, 0
	ds_write_b32 v26, v0 offset:132
.LBB17_106:
	s_or_b64 exec, exec, s[10:11]
	v_mov_b32_e32 v0, 0
	s_waitcnt lgkmcnt(0)
	s_barrier
	ds_read_b32 v0, v0 offset:132
	s_waitcnt lgkmcnt(0)
	v_readfirstlane_b32 s9, v0
	s_and_b32 s12, s9, 0x7f800000
	s_cmp_lg_u32 s12, 0x7f800000
	s_cselect_b64 s[10:11], -1, 0
	s_cmp_eq_u32 s12, 0x7f800000
	s_cbranch_scc1 .LBB17_108
; %bb.107:
	s_bfe_u32 s12, s9, 0x10010
	s_add_i32 s12, s9, s12
	s_add_i32 s15, s12, 0x7fff
	s_cbranch_execz .LBB17_109
	s_branch .LBB17_110
.LBB17_108:
                                        ; implicit-def: $sgpr15
.LBB17_109:
	s_and_b32 s12, s9, 0xffff
	s_or_b32 s13, s9, 0x10000
	s_cmp_eq_u32 s12, 0
	s_cselect_b32 s15, s9, s13
.LBB17_110:
	s_andn2_b64 vcc, exec, s[10:11]
	s_cbranch_vccnz .LBB17_112
; %bb.111:
	s_bfe_u32 s10, s9, 0x10010
	s_add_i32 s10, s9, s10
	s_add_i32 s12, s10, 0x7fff
	s_cbranch_execz .LBB17_113
	s_branch .LBB17_114
.LBB17_112:
                                        ; implicit-def: $sgpr12
.LBB17_113:
	s_and_b32 s10, s9, 0xffff
	s_or_b32 s11, s9, 0x10000
	s_cmp_eq_u32 s10, 0
	s_cselect_b32 s12, s9, s11
.LBB17_114:
	s_and_b32 s9, s15, 0xffff0000
	v_subrev_f32_e32 v14, s9, v14
	s_mov_b32 s10, 0x7f800000
	v_and_b32_e32 v0, 0x7f800000, v14
	v_cmp_ne_u32_e32 vcc, s10, v0
                                        ; implicit-def: $vgpr0
	s_and_saveexec_b64 s[10:11], vcc
	s_xor_b64 s[10:11], exec, s[10:11]
; %bb.115:
	v_bfe_u32 v0, v14, 16, 1
	s_movk_i32 s13, 0x7fff
	v_add3_u32 v0, v14, v0, s13
                                        ; implicit-def: $vgpr14
; %bb.116:
	s_andn2_saveexec_b64 s[10:11], s[10:11]
; %bb.117:
	v_mov_b32_e32 v0, 0
	v_or_b32_e32 v26, 0x10000, v14
	v_cmp_eq_u32_sdwa vcc, v14, v0 src0_sel:WORD_0 src1_sel:DWORD
	v_cndmask_b32_e32 v0, v26, v14, vcc
; %bb.118:
	s_or_b64 exec, exec, s[10:11]
	s_and_b32 s12, s12, 0xffff0000
	v_subrev_f32_e32 v15, s12, v15
	s_mov_b32 s10, 0x7f800000
	v_and_b32_e32 v14, 0x7f800000, v15
	v_cmp_ne_u32_e32 vcc, s10, v14
                                        ; implicit-def: $vgpr14
	s_and_saveexec_b64 s[10:11], vcc
	s_xor_b64 s[10:11], exec, s[10:11]
; %bb.119:
	v_bfe_u32 v14, v15, 16, 1
	s_movk_i32 s13, 0x7fff
	v_add3_u32 v14, v15, v14, s13
                                        ; implicit-def: $vgpr15
; %bb.120:
	s_andn2_saveexec_b64 s[10:11], s[10:11]
; %bb.121:
	v_mov_b32_e32 v14, 0
	v_or_b32_e32 v26, 0x10000, v15
	v_cmp_eq_u32_sdwa vcc, v15, v14 src0_sel:WORD_0 src1_sel:DWORD
	v_cndmask_b32_e32 v14, v26, v15, vcc
; %bb.122:
	s_or_b64 exec, exec, s[10:11]
	v_subrev_f32_e32 v16, s9, v16
	s_mov_b32 s10, 0x7f800000
	v_and_b32_e32 v15, 0x7f800000, v16
	v_cmp_ne_u32_e32 vcc, s10, v15
                                        ; implicit-def: $vgpr15
	s_and_saveexec_b64 s[10:11], vcc
	s_xor_b64 s[10:11], exec, s[10:11]
; %bb.123:
	v_bfe_u32 v15, v16, 16, 1
	s_movk_i32 s13, 0x7fff
	v_add3_u32 v15, v16, v15, s13
                                        ; implicit-def: $vgpr16
; %bb.124:
	s_andn2_saveexec_b64 s[10:11], s[10:11]
; %bb.125:
	v_mov_b32_e32 v15, 0
	v_or_b32_e32 v26, 0x10000, v16
	v_cmp_eq_u32_sdwa vcc, v16, v15 src0_sel:WORD_0 src1_sel:DWORD
	v_cndmask_b32_e32 v15, v26, v16, vcc
; %bb.126:
	s_or_b64 exec, exec, s[10:11]
	v_subrev_f32_e32 v17, s12, v17
	s_mov_b32 s10, 0x7f800000
	v_and_b32_e32 v16, 0x7f800000, v17
	v_cmp_ne_u32_e32 vcc, s10, v16
                                        ; implicit-def: $vgpr16
	s_and_saveexec_b64 s[10:11], vcc
	s_xor_b64 s[10:11], exec, s[10:11]
; %bb.127:
	v_bfe_u32 v16, v17, 16, 1
	s_movk_i32 s13, 0x7fff
	v_add3_u32 v16, v17, v16, s13
                                        ; implicit-def: $vgpr17
; %bb.128:
	s_andn2_saveexec_b64 s[10:11], s[10:11]
; %bb.129:
	v_mov_b32_e32 v16, 0
	v_or_b32_e32 v26, 0x10000, v17
	v_cmp_eq_u32_sdwa vcc, v17, v16 src0_sel:WORD_0 src1_sel:DWORD
	v_cndmask_b32_e32 v16, v26, v17, vcc
; %bb.130:
	s_or_b64 exec, exec, s[10:11]
	v_subrev_f32_e32 v17, s9, v13
	s_mov_b32 s10, 0x7f800000
	v_and_b32_e32 v13, 0x7f800000, v17
	v_cmp_ne_u32_e32 vcc, s10, v13
                                        ; implicit-def: $vgpr13
	s_and_saveexec_b64 s[10:11], vcc
	s_xor_b64 s[10:11], exec, s[10:11]
; %bb.131:
	v_bfe_u32 v13, v17, 16, 1
	s_movk_i32 s13, 0x7fff
	v_add3_u32 v13, v17, v13, s13
                                        ; implicit-def: $vgpr17
; %bb.132:
	s_andn2_saveexec_b64 s[10:11], s[10:11]
; %bb.133:
	v_mov_b32_e32 v13, 0
	v_or_b32_e32 v26, 0x10000, v17
	v_cmp_eq_u32_sdwa vcc, v17, v13 src0_sel:WORD_0 src1_sel:DWORD
	v_cndmask_b32_e32 v13, v26, v17, vcc
; %bb.134:
	s_or_b64 exec, exec, s[10:11]
	v_subrev_f32_e32 v17, s12, v18
	s_mov_b32 s10, 0x7f800000
	v_and_b32_e32 v18, 0x7f800000, v17
	v_cmp_ne_u32_e32 vcc, s10, v18
                                        ; implicit-def: $vgpr26
	s_and_saveexec_b64 s[10:11], vcc
	s_xor_b64 s[10:11], exec, s[10:11]
; %bb.135:
	v_bfe_u32 v18, v17, 16, 1
	s_movk_i32 s13, 0x7fff
	v_add3_u32 v26, v17, v18, s13
                                        ; implicit-def: $vgpr17
; %bb.136:
	s_andn2_saveexec_b64 s[10:11], s[10:11]
; %bb.137:
	v_mov_b32_e32 v18, 0
	v_or_b32_e32 v26, 0x10000, v17
	v_cmp_eq_u32_sdwa vcc, v17, v18 src0_sel:WORD_0 src1_sel:DWORD
	v_cndmask_b32_e32 v26, v26, v17, vcc
; %bb.138:
	s_or_b64 exec, exec, s[10:11]
	v_subrev_f32_e32 v17, s9, v12
	s_mov_b32 s9, 0x7f800000
	v_and_b32_e32 v12, 0x7f800000, v17
	v_cmp_ne_u32_e32 vcc, s9, v12
                                        ; implicit-def: $vgpr12
	s_and_saveexec_b64 s[10:11], vcc
	s_xor_b64 s[10:11], exec, s[10:11]
; %bb.139:
	v_bfe_u32 v12, v17, 16, 1
	s_movk_i32 s9, 0x7fff
	v_add3_u32 v12, v17, v12, s9
                                        ; implicit-def: $vgpr17
; %bb.140:
	s_andn2_saveexec_b64 s[10:11], s[10:11]
; %bb.141:
	v_mov_b32_e32 v12, 0
	v_or_b32_e32 v18, 0x10000, v17
	v_cmp_eq_u32_sdwa vcc, v17, v12 src0_sel:WORD_0 src1_sel:DWORD
	v_cndmask_b32_e32 v12, v18, v17, vcc
; %bb.142:
	s_or_b64 exec, exec, s[10:11]
	v_subrev_f32_e32 v17, s12, v19
	s_mov_b32 s9, 0x7f800000
	v_and_b32_e32 v18, 0x7f800000, v17
	v_cmp_ne_u32_e32 vcc, s9, v18
                                        ; implicit-def: $vgpr19
	s_and_saveexec_b64 s[10:11], vcc
	s_xor_b64 s[10:11], exec, s[10:11]
; %bb.143:
	v_bfe_u32 v18, v17, 16, 1
	s_movk_i32 s9, 0x7fff
	v_add3_u32 v19, v17, v18, s9
                                        ; implicit-def: $vgpr17
; %bb.144:
	s_andn2_saveexec_b64 s[10:11], s[10:11]
; %bb.145:
	v_mov_b32_e32 v18, 0
	v_or_b32_e32 v19, 0x10000, v17
	v_cmp_eq_u32_sdwa vcc, v17, v18 src0_sel:WORD_0 src1_sel:DWORD
	v_cndmask_b32_e32 v19, v19, v17, vcc
; %bb.146:
	s_or_b64 exec, exec, s[10:11]
	v_and_b32_e32 v18, 0xffff0000, v0
	v_and_b32_e32 v0, 0xffff0000, v14
	;; [unrolled: 1-line block ×3, first 2 shown]
	v_mul_f32_e32 v14, v0, v0
	v_and_b32_e32 v17, 0xffff0000, v15
	v_mul_f32_e32 v15, v16, v16
	v_fmac_f32_e32 v14, v18, v18
	v_fmac_f32_e32 v15, v17, v17
	v_add_f32_e32 v27, v14, v15
	v_and_b32_e32 v14, 0xffff0000, v26
	v_and_b32_e32 v15, 0xffff0000, v13
	v_mul_f32_e32 v13, v14, v14
	v_fmac_f32_e32 v13, v15, v15
	v_add_f32_e32 v26, v27, v13
	v_and_b32_e32 v13, 0xffff0000, v12
	v_and_b32_e32 v12, 0xffff0000, v19
	v_mul_f32_e32 v19, v12, v12
	v_fmac_f32_e32 v19, v13, v13
	v_add_f32_e32 v19, v26, v19
	ds_bpermute_b32 v26, v10, v19
	s_waitcnt lgkmcnt(0)
	v_add_f32_e32 v19, v19, v26
	ds_bpermute_b32 v26, v11, v19
	s_waitcnt lgkmcnt(0)
	;; [unrolled: 3-line block ×4, first 2 shown]
	v_add_f32_e32 v19, v19, v26
	ds_bpermute_b32 v26, v22, v19
	s_and_saveexec_b64 s[10:11], s[0:1]
	s_xor_b64 s[0:1], exec, s[10:11]
	s_cbranch_execz .LBB17_148
; %bb.147:
	s_waitcnt lgkmcnt(0)
	v_add_f32_e32 v19, v19, v26
	ds_write_b32 v24, v19
.LBB17_148:
	s_or_b64 exec, exec, s[0:1]
	v_mov_b32_e32 v19, 0
	s_waitcnt lgkmcnt(0)
	s_barrier
	s_and_saveexec_b64 s[0:1], s[2:3]
	s_cbranch_execz .LBB17_150
; %bb.149:
	ds_read_b32 v19, v25
.LBB17_150:
	s_or_b64 exec, exec, s[0:1]
	s_waitcnt lgkmcnt(0)
	ds_bpermute_b32 v10, v10, v19
	s_waitcnt lgkmcnt(0)
	v_add_f32_e32 v10, v19, v10
	ds_bpermute_b32 v11, v11, v10
	s_waitcnt lgkmcnt(0)
	v_add_f32_e32 v10, v10, v11
	;; [unrolled: 3-line block ×4, first 2 shown]
	ds_bpermute_b32 v11, v22, v10
	s_and_saveexec_b64 s[0:1], s[6:7]
	s_cbranch_execz .LBB17_152
; %bb.151:
	s_waitcnt lgkmcnt(0)
	v_add_f32_e32 v10, v10, v11
	v_div_scale_f32 v11, s[2:3], v23, v23, v10
	v_rcp_f32_e32 v19, v11
	v_div_scale_f32 v20, vcc, v10, v23, v10
	s_mov_b32 s2, 0x800000
	v_fma_f32 v21, -v11, v19, 1.0
	v_fmac_f32_e32 v19, v21, v19
	v_mul_f32_e32 v21, v20, v19
	v_fma_f32 v22, -v11, v21, v20
	v_fmac_f32_e32 v21, v22, v19
	v_fma_f32 v11, -v11, v21, v20
	v_div_fmas_f32 v11, v11, v19, v21
	v_div_fixup_f32 v10, v11, v23, v10
	v_add_f32_e32 v10, s8, v10
	v_mul_f32_e32 v11, 0x4b800000, v10
	v_cmp_gt_f32_e32 vcc, s2, v10
	v_cndmask_b32_e32 v10, v10, v11, vcc
	v_rsq_f32_e32 v10, v10
	v_mul_f32_e32 v11, 0x45800000, v10
	v_cndmask_b32_e32 v10, v10, v11, vcc
	v_mov_b32_e32 v11, 0
	ds_write_b32 v11, v10 offset:128
.LBB17_152:
	s_or_b64 exec, exec, s[0:1]
	v_mov_b32_e32 v10, 0
	s_waitcnt lgkmcnt(0)
	s_barrier
	ds_read_b32 v10, v10 offset:128
	s_waitcnt lgkmcnt(0)
	v_readfirstlane_b32 s8, v10
	s_and_b32 s0, s8, 0x7f800000
	s_cmp_lg_u32 s0, 0x7f800000
	s_cselect_b64 s[6:7], -1, 0
	s_cmp_eq_u32 s0, 0x7f800000
	s_cbranch_scc1 .LBB17_154
; %bb.153:
	s_bfe_u32 s0, s8, 0x10010
	s_add_i32 s0, s8, s0
	s_add_i32 s9, s0, 0x7fff
	s_cbranch_execz .LBB17_155
	s_branch .LBB17_156
.LBB17_154:
                                        ; implicit-def: $sgpr9
.LBB17_155:
	s_and_b32 s0, s8, 0xffff
	s_or_b32 s1, s8, 0x10000
	s_cmp_eq_u32 s0, 0
	s_cselect_b32 s9, s8, s1
.LBB17_156:
	s_load_dwordx4 s[0:3], s[4:5], 0x18
	s_andn2_b64 vcc, exec, s[6:7]
	s_cbranch_vccnz .LBB17_158
; %bb.157:
	s_bfe_u32 s4, s8, 0x10010
	s_add_i32 s4, s8, s4
	s_add_i32 s7, s4, 0x7fff
	s_cbranch_execz .LBB17_159
	s_branch .LBB17_160
.LBB17_158:
                                        ; implicit-def: $sgpr7
.LBB17_159:
	s_and_b32 s4, s8, 0xffff
	s_or_b32 s5, s8, 0x10000
	s_cmp_eq_u32 s4, 0
	s_cselect_b32 s7, s8, s5
.LBB17_160:
	s_waitcnt lgkmcnt(0)
	global_load_dword v11, v1, s[0:1]
	global_load_dword v10, v1, s[2:3]
	s_and_b32 s6, s9, 0xffff0000
	v_mul_f32_e32 v19, s6, v18
	s_mov_b32 s4, 0x7f800000
	v_and_b32_e32 v18, 0x7f800000, v19
	v_cmp_ne_u32_e32 vcc, s4, v18
                                        ; implicit-def: $vgpr18
	s_and_saveexec_b64 s[4:5], vcc
	s_xor_b64 s[4:5], exec, s[4:5]
; %bb.161:
	v_bfe_u32 v18, v19, 16, 1
	s_movk_i32 s8, 0x7fff
	v_add3_u32 v18, v19, v18, s8
                                        ; implicit-def: $vgpr19
; %bb.162:
	s_andn2_saveexec_b64 s[4:5], s[4:5]
; %bb.163:
	v_mov_b32_e32 v18, 0
	v_or_b32_e32 v20, 0x10000, v19
	v_cmp_eq_u32_sdwa vcc, v19, v18 src0_sel:WORD_0 src1_sel:DWORD
	v_cndmask_b32_e32 v18, v20, v19, vcc
; %bb.164:
	s_or_b64 exec, exec, s[4:5]
	s_and_b32 s7, s7, 0xffff0000
	v_mul_f32_e32 v19, s7, v0
	s_mov_b32 s4, 0x7f800000
	v_and_b32_e32 v0, 0x7f800000, v19
	v_cmp_ne_u32_e32 vcc, s4, v0
                                        ; implicit-def: $vgpr0
	s_and_saveexec_b64 s[4:5], vcc
	s_xor_b64 s[4:5], exec, s[4:5]
; %bb.165:
	v_bfe_u32 v0, v19, 16, 1
	s_movk_i32 s8, 0x7fff
	v_add3_u32 v0, v19, v0, s8
                                        ; implicit-def: $vgpr19
; %bb.166:
	s_andn2_saveexec_b64 s[4:5], s[4:5]
; %bb.167:
	v_mov_b32_e32 v0, 0
	v_or_b32_e32 v20, 0x10000, v19
	v_cmp_eq_u32_sdwa vcc, v19, v0 src0_sel:WORD_0 src1_sel:DWORD
	v_cndmask_b32_e32 v0, v20, v19, vcc
; %bb.168:
	s_or_b64 exec, exec, s[4:5]
	v_and_b32_e32 v18, 0xffff0000, v18
	s_waitcnt vmcnt(1)
	v_lshlrev_b32_e32 v19, 16, v11
	v_mul_f32_e32 v19, v19, v18
	s_mov_b32 s4, 0x7f800000
	v_and_b32_e32 v18, 0x7f800000, v19
	v_cmp_ne_u32_e32 vcc, s4, v18
                                        ; implicit-def: $vgpr18
	s_and_saveexec_b64 s[4:5], vcc
	s_xor_b64 s[4:5], exec, s[4:5]
; %bb.169:
	v_bfe_u32 v18, v19, 16, 1
	s_movk_i32 s8, 0x7fff
	v_add3_u32 v18, v19, v18, s8
                                        ; implicit-def: $vgpr19
; %bb.170:
	s_andn2_saveexec_b64 s[4:5], s[4:5]
; %bb.171:
	v_mov_b32_e32 v18, 0
	v_or_b32_e32 v20, 0x10000, v19
	v_cmp_eq_u32_sdwa vcc, v19, v18 src0_sel:WORD_0 src1_sel:DWORD
	v_cndmask_b32_e32 v18, v20, v19, vcc
; %bb.172:
	s_or_b64 exec, exec, s[4:5]
	v_and_b32_e32 v0, 0xffff0000, v0
	v_and_b32_e32 v11, 0xffff0000, v11
	v_mul_f32_e32 v11, v11, v0
	s_mov_b32 s4, 0x7f800000
	v_and_b32_e32 v0, 0x7f800000, v11
	v_cmp_ne_u32_e32 vcc, s4, v0
                                        ; implicit-def: $vgpr0
	s_and_saveexec_b64 s[4:5], vcc
	s_xor_b64 s[4:5], exec, s[4:5]
; %bb.173:
	v_bfe_u32 v0, v11, 16, 1
	s_movk_i32 s8, 0x7fff
	v_add3_u32 v0, v11, v0, s8
                                        ; implicit-def: $vgpr11
; %bb.174:
	s_andn2_saveexec_b64 s[4:5], s[4:5]
; %bb.175:
	v_mov_b32_e32 v0, 0
	v_or_b32_e32 v19, 0x10000, v11
	v_cmp_eq_u32_sdwa vcc, v11, v0 src0_sel:WORD_0 src1_sel:DWORD
	v_cndmask_b32_e32 v0, v19, v11, vcc
; %bb.176:
	s_or_b64 exec, exec, s[4:5]
	v_and_b32_e32 v11, 0xffff0000, v18
	s_waitcnt vmcnt(0)
	v_lshlrev_b32_e32 v18, 16, v10
	v_add_f32_e32 v11, v18, v11
	s_mov_b32 s4, 0x7f800000
	v_and_b32_e32 v18, 0x7f800000, v11
	v_cmp_ne_u32_e32 vcc, s4, v18
                                        ; implicit-def: $vgpr20
	s_and_saveexec_b64 s[4:5], vcc
	s_xor_b64 s[4:5], exec, s[4:5]
; %bb.177:
	v_bfe_u32 v18, v11, 16, 1
	s_movk_i32 s8, 0x7fff
	v_add3_u32 v20, v11, v18, s8
                                        ; implicit-def: $vgpr11
; %bb.178:
	s_or_saveexec_b64 s[4:5], s[4:5]
	v_mov_b32_e32 v18, s1
	v_mov_b32_e32 v22, s3
	s_xor_b64 exec, exec, s[4:5]
; %bb.179:
	v_mov_b32_e32 v19, 0
	v_or_b32_e32 v20, 0x10000, v11
	v_cmp_eq_u32_sdwa vcc, v11, v19 src0_sel:WORD_0 src1_sel:DWORD
	v_cndmask_b32_e32 v20, v20, v11, vcc
; %bb.180:
	s_or_b64 exec, exec, s[4:5]
	v_add_co_u32_e32 v19, vcc, s0, v1
	v_addc_co_u32_e32 v21, vcc, 0, v18, vcc
	v_add_co_u32_e32 v11, vcc, s2, v1
	v_and_b32_e32 v0, 0xffff0000, v0
	v_and_b32_e32 v1, 0xffff0000, v10
	v_add_f32_e32 v0, v1, v0
	v_addc_co_u32_e32 v18, vcc, 0, v22, vcc
	s_mov_b32 s0, 0x7f800000
	v_and_b32_e32 v1, 0x7f800000, v0
	v_cmp_ne_u32_e32 vcc, s0, v1
                                        ; implicit-def: $vgpr22
	s_and_saveexec_b64 s[0:1], vcc
	s_xor_b64 s[0:1], exec, s[0:1]
; %bb.181:
	v_bfe_u32 v1, v0, 16, 1
	s_movk_i32 s2, 0x7fff
	v_add3_u32 v22, v0, v1, s2
                                        ; implicit-def: $vgpr0
; %bb.182:
	s_andn2_saveexec_b64 s[0:1], s[0:1]
; %bb.183:
	v_mov_b32_e32 v1, 0
	v_or_b32_e32 v10, 0x10000, v0
	v_cmp_eq_u32_sdwa vcc, v0, v1 src0_sel:WORD_0 src1_sel:DWORD
	v_cndmask_b32_e32 v22, v10, v0, vcc
; %bb.184:
	s_or_b64 exec, exec, s[0:1]
	v_add_co_u32_e32 v0, vcc, s14, v19
	v_addc_co_u32_e32 v1, vcc, 0, v21, vcc
	v_add_co_u32_e32 v10, vcc, s14, v11
	v_addc_co_u32_e32 v11, vcc, 0, v18, vcc
	global_load_dword v19, v[0:1], off
	global_load_dword v18, v[10:11], off
	s_mov_b32 s0, 0x7060302
	v_perm_b32 v20, v22, v20, s0
	global_store_dword v[2:3], v20, off
	v_mul_f32_e32 v2, s6, v17
	s_mov_b32 s0, 0x7f800000
	v_and_b32_e32 v3, 0x7f800000, v2
	v_cmp_ne_u32_e32 vcc, s0, v3
                                        ; implicit-def: $vgpr3
	s_and_saveexec_b64 s[0:1], vcc
	s_xor_b64 s[0:1], exec, s[0:1]
; %bb.185:
	v_bfe_u32 v3, v2, 16, 1
	s_movk_i32 s2, 0x7fff
	v_add3_u32 v3, v2, v3, s2
                                        ; implicit-def: $vgpr2
; %bb.186:
	s_andn2_saveexec_b64 s[0:1], s[0:1]
; %bb.187:
	v_mov_b32_e32 v3, 0
	v_or_b32_e32 v17, 0x10000, v2
	v_cmp_eq_u32_sdwa vcc, v2, v3 src0_sel:WORD_0 src1_sel:DWORD
	v_cndmask_b32_e32 v3, v17, v2, vcc
; %bb.188:
	s_or_b64 exec, exec, s[0:1]
	v_mul_f32_e32 v16, s7, v16
	s_mov_b32 s0, 0x7f800000
	v_and_b32_e32 v2, 0x7f800000, v16
	v_cmp_ne_u32_e32 vcc, s0, v2
                                        ; implicit-def: $vgpr2
	s_and_saveexec_b64 s[0:1], vcc
	s_xor_b64 s[0:1], exec, s[0:1]
; %bb.189:
	v_bfe_u32 v2, v16, 16, 1
	s_movk_i32 s2, 0x7fff
	v_add3_u32 v2, v16, v2, s2
                                        ; implicit-def: $vgpr16
; %bb.190:
	s_andn2_saveexec_b64 s[0:1], s[0:1]
; %bb.191:
	v_mov_b32_e32 v2, 0
	v_or_b32_e32 v17, 0x10000, v16
	v_cmp_eq_u32_sdwa vcc, v16, v2 src0_sel:WORD_0 src1_sel:DWORD
	v_cndmask_b32_e32 v2, v17, v16, vcc
; %bb.192:
	s_or_b64 exec, exec, s[0:1]
	v_and_b32_e32 v3, 0xffff0000, v3
	s_waitcnt vmcnt(2)
	v_lshlrev_b32_e32 v16, 16, v19
	v_mul_f32_e32 v16, v16, v3
	s_mov_b32 s0, 0x7f800000
	v_and_b32_e32 v3, 0x7f800000, v16
	v_cmp_ne_u32_e32 vcc, s0, v3
                                        ; implicit-def: $vgpr3
	s_and_saveexec_b64 s[0:1], vcc
	s_xor_b64 s[0:1], exec, s[0:1]
; %bb.193:
	v_bfe_u32 v3, v16, 16, 1
	s_movk_i32 s2, 0x7fff
	v_add3_u32 v3, v16, v3, s2
                                        ; implicit-def: $vgpr16
; %bb.194:
	s_andn2_saveexec_b64 s[0:1], s[0:1]
; %bb.195:
	v_mov_b32_e32 v3, 0
	v_or_b32_e32 v17, 0x10000, v16
	v_cmp_eq_u32_sdwa vcc, v16, v3 src0_sel:WORD_0 src1_sel:DWORD
	v_cndmask_b32_e32 v3, v17, v16, vcc
; %bb.196:
	s_or_b64 exec, exec, s[0:1]
	v_and_b32_e32 v2, 0xffff0000, v2
	v_and_b32_e32 v16, 0xffff0000, v19
	v_mul_f32_e32 v16, v16, v2
	s_mov_b32 s0, 0x7f800000
	v_and_b32_e32 v2, 0x7f800000, v16
	v_cmp_ne_u32_e32 vcc, s0, v2
                                        ; implicit-def: $vgpr2
	s_and_saveexec_b64 s[0:1], vcc
	s_xor_b64 s[0:1], exec, s[0:1]
; %bb.197:
	v_bfe_u32 v2, v16, 16, 1
	s_movk_i32 s2, 0x7fff
	v_add3_u32 v2, v16, v2, s2
                                        ; implicit-def: $vgpr16
; %bb.198:
	s_andn2_saveexec_b64 s[0:1], s[0:1]
; %bb.199:
	v_mov_b32_e32 v2, 0
	v_or_b32_e32 v17, 0x10000, v16
	v_cmp_eq_u32_sdwa vcc, v16, v2 src0_sel:WORD_0 src1_sel:DWORD
	v_cndmask_b32_e32 v2, v17, v16, vcc
; %bb.200:
	s_or_b64 exec, exec, s[0:1]
	v_and_b32_e32 v3, 0xffff0000, v3
	s_waitcnt vmcnt(1)
	v_lshlrev_b32_e32 v16, 16, v18
	v_add_f32_e32 v3, v16, v3
	s_mov_b32 s0, 0x7f800000
	v_and_b32_e32 v16, 0x7f800000, v3
	v_cmp_ne_u32_e32 vcc, s0, v16
                                        ; implicit-def: $vgpr17
	s_and_saveexec_b64 s[0:1], vcc
	s_xor_b64 s[0:1], exec, s[0:1]
; %bb.201:
	v_bfe_u32 v16, v3, 16, 1
	s_movk_i32 s2, 0x7fff
	v_add3_u32 v17, v3, v16, s2
                                        ; implicit-def: $vgpr3
; %bb.202:
	s_andn2_saveexec_b64 s[0:1], s[0:1]
; %bb.203:
	v_mov_b32_e32 v16, 0
	v_or_b32_e32 v17, 0x10000, v3
	v_cmp_eq_u32_sdwa vcc, v3, v16 src0_sel:WORD_0 src1_sel:DWORD
	v_cndmask_b32_e32 v17, v17, v3, vcc
; %bb.204:
	s_or_b64 exec, exec, s[0:1]
	v_and_b32_e32 v2, 0xffff0000, v2
	v_and_b32_e32 v3, 0xffff0000, v18
	v_add_f32_e32 v2, v3, v2
	s_mov_b32 s0, 0x7f800000
	v_and_b32_e32 v3, 0x7f800000, v2
	v_cmp_ne_u32_e32 vcc, s0, v3
                                        ; implicit-def: $vgpr18
	s_and_saveexec_b64 s[0:1], vcc
	s_xor_b64 s[0:1], exec, s[0:1]
; %bb.205:
	v_bfe_u32 v3, v2, 16, 1
	s_movk_i32 s2, 0x7fff
	v_add3_u32 v18, v2, v3, s2
                                        ; implicit-def: $vgpr2
; %bb.206:
	s_andn2_saveexec_b64 s[0:1], s[0:1]
; %bb.207:
	v_mov_b32_e32 v3, 0
	v_or_b32_e32 v16, 0x10000, v2
	v_cmp_eq_u32_sdwa vcc, v2, v3 src0_sel:WORD_0 src1_sel:DWORD
	v_cndmask_b32_e32 v18, v16, v2, vcc
; %bb.208:
	s_or_b64 exec, exec, s[0:1]
	v_add_co_u32_e32 v0, vcc, s14, v0
	v_addc_co_u32_e32 v1, vcc, 0, v1, vcc
	v_add_co_u32_e32 v2, vcc, s14, v10
	v_addc_co_u32_e32 v3, vcc, 0, v11, vcc
	global_load_dword v16, v[0:1], off
	global_load_dword v10, v[2:3], off
	s_mov_b32 s0, 0x7060302
	v_perm_b32 v11, v18, v17, s0
	global_store_dword v[4:5], v11, off
	v_mul_f32_e32 v4, s6, v15
	s_mov_b32 s0, 0x7f800000
	v_and_b32_e32 v5, 0x7f800000, v4
	v_cmp_ne_u32_e32 vcc, s0, v5
                                        ; implicit-def: $vgpr5
	s_and_saveexec_b64 s[0:1], vcc
	s_xor_b64 s[0:1], exec, s[0:1]
; %bb.209:
	v_bfe_u32 v5, v4, 16, 1
	s_movk_i32 s2, 0x7fff
	v_add3_u32 v5, v4, v5, s2
                                        ; implicit-def: $vgpr4
; %bb.210:
	s_andn2_saveexec_b64 s[0:1], s[0:1]
; %bb.211:
	v_mov_b32_e32 v5, 0
	v_or_b32_e32 v11, 0x10000, v4
	v_cmp_eq_u32_sdwa vcc, v4, v5 src0_sel:WORD_0 src1_sel:DWORD
	v_cndmask_b32_e32 v5, v11, v4, vcc
; %bb.212:
	s_or_b64 exec, exec, s[0:1]
	v_mul_f32_e32 v11, s7, v14
	s_mov_b32 s0, 0x7f800000
	v_and_b32_e32 v4, 0x7f800000, v11
	v_cmp_ne_u32_e32 vcc, s0, v4
                                        ; implicit-def: $vgpr4
	s_and_saveexec_b64 s[0:1], vcc
	s_xor_b64 s[0:1], exec, s[0:1]
; %bb.213:
	v_bfe_u32 v4, v11, 16, 1
	s_movk_i32 s2, 0x7fff
	v_add3_u32 v4, v11, v4, s2
                                        ; implicit-def: $vgpr11
; %bb.214:
	s_andn2_saveexec_b64 s[0:1], s[0:1]
; %bb.215:
	v_mov_b32_e32 v4, 0
	v_or_b32_e32 v14, 0x10000, v11
	v_cmp_eq_u32_sdwa vcc, v11, v4 src0_sel:WORD_0 src1_sel:DWORD
	v_cndmask_b32_e32 v4, v14, v11, vcc
; %bb.216:
	s_or_b64 exec, exec, s[0:1]
	v_and_b32_e32 v5, 0xffff0000, v5
	s_waitcnt vmcnt(2)
	v_lshlrev_b32_e32 v11, 16, v16
	v_mul_f32_e32 v11, v11, v5
	s_mov_b32 s0, 0x7f800000
	v_and_b32_e32 v5, 0x7f800000, v11
	v_cmp_ne_u32_e32 vcc, s0, v5
                                        ; implicit-def: $vgpr5
	s_and_saveexec_b64 s[0:1], vcc
	s_xor_b64 s[0:1], exec, s[0:1]
; %bb.217:
	v_bfe_u32 v5, v11, 16, 1
	s_movk_i32 s2, 0x7fff
	v_add3_u32 v5, v11, v5, s2
                                        ; implicit-def: $vgpr11
; %bb.218:
	s_andn2_saveexec_b64 s[0:1], s[0:1]
; %bb.219:
	v_mov_b32_e32 v5, 0
	v_or_b32_e32 v14, 0x10000, v11
	v_cmp_eq_u32_sdwa vcc, v11, v5 src0_sel:WORD_0 src1_sel:DWORD
	v_cndmask_b32_e32 v5, v14, v11, vcc
; %bb.220:
	s_or_b64 exec, exec, s[0:1]
	v_and_b32_e32 v4, 0xffff0000, v4
	v_and_b32_e32 v11, 0xffff0000, v16
	v_mul_f32_e32 v4, v11, v4
	s_mov_b32 s0, 0x7f800000
	v_and_b32_e32 v11, 0x7f800000, v4
	v_cmp_ne_u32_e32 vcc, s0, v11
                                        ; implicit-def: $vgpr11
	s_and_saveexec_b64 s[0:1], vcc
	s_xor_b64 s[0:1], exec, s[0:1]
; %bb.221:
	v_bfe_u32 v11, v4, 16, 1
	s_movk_i32 s2, 0x7fff
	v_add3_u32 v11, v4, v11, s2
                                        ; implicit-def: $vgpr4
; %bb.222:
	s_andn2_saveexec_b64 s[0:1], s[0:1]
; %bb.223:
	v_mov_b32_e32 v11, 0
	v_or_b32_e32 v14, 0x10000, v4
	v_cmp_eq_u32_sdwa vcc, v4, v11 src0_sel:WORD_0 src1_sel:DWORD
	v_cndmask_b32_e32 v11, v14, v4, vcc
; %bb.224:
	s_or_b64 exec, exec, s[0:1]
	v_and_b32_e32 v4, 0xffff0000, v5
	s_waitcnt vmcnt(1)
	v_lshlrev_b32_e32 v5, 16, v10
	v_add_f32_e32 v5, v5, v4
	s_mov_b32 s0, 0x7f800000
	v_and_b32_e32 v4, 0x7f800000, v5
	v_cmp_ne_u32_e32 vcc, s0, v4
                                        ; implicit-def: $vgpr4
	s_and_saveexec_b64 s[0:1], vcc
	s_xor_b64 s[0:1], exec, s[0:1]
; %bb.225:
	v_bfe_u32 v4, v5, 16, 1
	s_movk_i32 s2, 0x7fff
	v_add3_u32 v4, v5, v4, s2
                                        ; implicit-def: $vgpr5
; %bb.226:
	s_andn2_saveexec_b64 s[0:1], s[0:1]
; %bb.227:
	v_mov_b32_e32 v4, 0
	v_or_b32_e32 v14, 0x10000, v5
	v_cmp_eq_u32_sdwa vcc, v5, v4 src0_sel:WORD_0 src1_sel:DWORD
	v_cndmask_b32_e32 v4, v14, v5, vcc
; %bb.228:
	s_or_b64 exec, exec, s[0:1]
	v_and_b32_e32 v5, 0xffff0000, v11
	v_and_b32_e32 v10, 0xffff0000, v10
	v_add_f32_e32 v10, v10, v5
	s_mov_b32 s0, 0x7f800000
	v_and_b32_e32 v5, 0x7f800000, v10
	v_cmp_ne_u32_e32 vcc, s0, v5
                                        ; implicit-def: $vgpr5
	s_and_saveexec_b64 s[0:1], vcc
	s_xor_b64 s[0:1], exec, s[0:1]
; %bb.229:
	v_bfe_u32 v5, v10, 16, 1
	s_movk_i32 s2, 0x7fff
	v_add3_u32 v5, v10, v5, s2
                                        ; implicit-def: $vgpr10
; %bb.230:
	s_andn2_saveexec_b64 s[0:1], s[0:1]
; %bb.231:
	v_mov_b32_e32 v5, 0
	v_or_b32_e32 v11, 0x10000, v10
	v_cmp_eq_u32_sdwa vcc, v10, v5 src0_sel:WORD_0 src1_sel:DWORD
	v_cndmask_b32_e32 v5, v11, v10, vcc
; %bb.232:
	s_or_b64 exec, exec, s[0:1]
	v_add_co_u32_e32 v0, vcc, s14, v0
	v_addc_co_u32_e32 v1, vcc, 0, v1, vcc
	v_add_co_u32_e32 v2, vcc, s14, v2
	v_addc_co_u32_e32 v3, vcc, 0, v3, vcc
	global_load_dword v1, v[0:1], off
	s_mov_b32 s0, 0x7060302
	global_load_dword v0, v[2:3], off
	v_perm_b32 v2, v5, v4, s0
	global_store_dword v[6:7], v2, off
	v_mul_f32_e32 v2, s6, v13
	s_mov_b32 s0, 0x7f800000
	v_and_b32_e32 v3, 0x7f800000, v2
	v_cmp_ne_u32_e32 vcc, s0, v3
                                        ; implicit-def: $vgpr3
	s_and_saveexec_b64 s[0:1], vcc
	s_xor_b64 s[0:1], exec, s[0:1]
; %bb.233:
	v_bfe_u32 v3, v2, 16, 1
	s_movk_i32 s2, 0x7fff
	v_add3_u32 v3, v2, v3, s2
                                        ; implicit-def: $vgpr2
; %bb.234:
	s_andn2_saveexec_b64 s[0:1], s[0:1]
; %bb.235:
	v_mov_b32_e32 v3, 0
	v_or_b32_e32 v4, 0x10000, v2
	v_cmp_eq_u32_sdwa vcc, v2, v3 src0_sel:WORD_0 src1_sel:DWORD
	v_cndmask_b32_e32 v3, v4, v2, vcc
; %bb.236:
	s_or_b64 exec, exec, s[0:1]
	v_mul_f32_e32 v4, s7, v12
	s_mov_b32 s0, 0x7f800000
	v_and_b32_e32 v2, 0x7f800000, v4
	v_cmp_ne_u32_e32 vcc, s0, v2
                                        ; implicit-def: $vgpr2
	s_and_saveexec_b64 s[0:1], vcc
	s_xor_b64 s[0:1], exec, s[0:1]
; %bb.237:
	v_bfe_u32 v2, v4, 16, 1
	s_movk_i32 s2, 0x7fff
	v_add3_u32 v2, v4, v2, s2
                                        ; implicit-def: $vgpr4
; %bb.238:
	s_andn2_saveexec_b64 s[0:1], s[0:1]
; %bb.239:
	v_mov_b32_e32 v2, 0
	v_or_b32_e32 v5, 0x10000, v4
	v_cmp_eq_u32_sdwa vcc, v4, v2 src0_sel:WORD_0 src1_sel:DWORD
	v_cndmask_b32_e32 v2, v5, v4, vcc
; %bb.240:
	s_or_b64 exec, exec, s[0:1]
	v_and_b32_e32 v3, 0xffff0000, v3
	s_waitcnt vmcnt(2)
	v_lshlrev_b32_e32 v4, 16, v1
	v_mul_f32_e32 v4, v4, v3
	s_mov_b32 s0, 0x7f800000
	v_and_b32_e32 v3, 0x7f800000, v4
	v_cmp_ne_u32_e32 vcc, s0, v3
                                        ; implicit-def: $vgpr3
	s_and_saveexec_b64 s[0:1], vcc
	s_xor_b64 s[0:1], exec, s[0:1]
; %bb.241:
	v_bfe_u32 v3, v4, 16, 1
	s_movk_i32 s2, 0x7fff
	v_add3_u32 v3, v4, v3, s2
                                        ; implicit-def: $vgpr4
; %bb.242:
	s_andn2_saveexec_b64 s[0:1], s[0:1]
; %bb.243:
	v_mov_b32_e32 v3, 0
	v_or_b32_e32 v5, 0x10000, v4
	v_cmp_eq_u32_sdwa vcc, v4, v3 src0_sel:WORD_0 src1_sel:DWORD
	v_cndmask_b32_e32 v3, v5, v4, vcc
; %bb.244:
	s_or_b64 exec, exec, s[0:1]
	v_and_b32_e32 v2, 0xffff0000, v2
	v_and_b32_e32 v1, 0xffff0000, v1
	v_mul_f32_e32 v1, v1, v2
	s_mov_b32 s0, 0x7f800000
	v_and_b32_e32 v2, 0x7f800000, v1
	v_cmp_ne_u32_e32 vcc, s0, v2
                                        ; implicit-def: $vgpr2
	s_and_saveexec_b64 s[0:1], vcc
	s_xor_b64 s[0:1], exec, s[0:1]
; %bb.245:
	v_bfe_u32 v2, v1, 16, 1
	s_movk_i32 s2, 0x7fff
	v_add3_u32 v2, v1, v2, s2
                                        ; implicit-def: $vgpr1
; %bb.246:
	s_andn2_saveexec_b64 s[0:1], s[0:1]
; %bb.247:
	v_mov_b32_e32 v2, 0
	v_or_b32_e32 v4, 0x10000, v1
	v_cmp_eq_u32_sdwa vcc, v1, v2 src0_sel:WORD_0 src1_sel:DWORD
	v_cndmask_b32_e32 v2, v4, v1, vcc
; %bb.248:
	s_or_b64 exec, exec, s[0:1]
	v_and_b32_e32 v1, 0xffff0000, v3
	s_waitcnt vmcnt(1)
	v_lshlrev_b32_e32 v3, 16, v0
	v_add_f32_e32 v3, v3, v1
	s_mov_b32 s0, 0x7f800000
	v_and_b32_e32 v1, 0x7f800000, v3
	v_cmp_ne_u32_e32 vcc, s0, v1
                                        ; implicit-def: $vgpr1
	s_and_saveexec_b64 s[0:1], vcc
	s_xor_b64 s[0:1], exec, s[0:1]
; %bb.249:
	v_bfe_u32 v1, v3, 16, 1
	s_movk_i32 s2, 0x7fff
	v_add3_u32 v1, v3, v1, s2
                                        ; implicit-def: $vgpr3
; %bb.250:
	s_andn2_saveexec_b64 s[0:1], s[0:1]
; %bb.251:
	v_mov_b32_e32 v1, 0
	v_or_b32_e32 v4, 0x10000, v3
	v_cmp_eq_u32_sdwa vcc, v3, v1 src0_sel:WORD_0 src1_sel:DWORD
	v_cndmask_b32_e32 v1, v4, v3, vcc
; %bb.252:
	s_or_b64 exec, exec, s[0:1]
	v_and_b32_e32 v2, 0xffff0000, v2
	v_and_b32_e32 v0, 0xffff0000, v0
	v_add_f32_e32 v0, v0, v2
	s_mov_b32 s0, 0x7f800000
	v_and_b32_e32 v2, 0x7f800000, v0
	v_cmp_ne_u32_e32 vcc, s0, v2
                                        ; implicit-def: $vgpr2
	s_and_saveexec_b64 s[0:1], vcc
	s_xor_b64 s[0:1], exec, s[0:1]
; %bb.253:
	v_bfe_u32 v2, v0, 16, 1
	s_movk_i32 s2, 0x7fff
	v_add3_u32 v2, v0, v2, s2
                                        ; implicit-def: $vgpr0
; %bb.254:
	s_andn2_saveexec_b64 s[0:1], s[0:1]
; %bb.255:
	v_mov_b32_e32 v2, 0
	v_or_b32_e32 v3, 0x10000, v0
	v_cmp_eq_u32_sdwa vcc, v0, v2 src0_sel:WORD_0 src1_sel:DWORD
	v_cndmask_b32_e32 v2, v3, v0, vcc
; %bb.256:
	s_or_b64 exec, exec, s[0:1]
	s_mov_b32 s0, 0x7060302
	v_perm_b32 v0, v2, v1, s0
	global_store_dword v[8:9], v0, off
	s_endpgm
	.section	.rodata,"a",@progbits
	.p2align	6, 0x0
	.amdhsa_kernel _Z30addBiasResidualPostLayerNormV2I14__hip_bfloat16Li32EEvPT_PKS1_S4_S4_S4_fi
		.amdhsa_group_segment_fixed_size 136
		.amdhsa_private_segment_fixed_size 0
		.amdhsa_kernarg_size 304
		.amdhsa_user_sgpr_count 6
		.amdhsa_user_sgpr_private_segment_buffer 1
		.amdhsa_user_sgpr_dispatch_ptr 0
		.amdhsa_user_sgpr_queue_ptr 0
		.amdhsa_user_sgpr_kernarg_segment_ptr 1
		.amdhsa_user_sgpr_dispatch_id 0
		.amdhsa_user_sgpr_flat_scratch_init 0
		.amdhsa_user_sgpr_kernarg_preload_length 0
		.amdhsa_user_sgpr_kernarg_preload_offset 0
		.amdhsa_user_sgpr_private_segment_size 0
		.amdhsa_uses_dynamic_stack 0
		.amdhsa_system_sgpr_private_segment_wavefront_offset 0
		.amdhsa_system_sgpr_workgroup_id_x 1
		.amdhsa_system_sgpr_workgroup_id_y 0
		.amdhsa_system_sgpr_workgroup_id_z 0
		.amdhsa_system_sgpr_workgroup_info 0
		.amdhsa_system_vgpr_workitem_id 0
		.amdhsa_next_free_vgpr 31
		.amdhsa_next_free_sgpr 16
		.amdhsa_accum_offset 32
		.amdhsa_reserve_vcc 1
		.amdhsa_reserve_flat_scratch 0
		.amdhsa_float_round_mode_32 0
		.amdhsa_float_round_mode_16_64 0
		.amdhsa_float_denorm_mode_32 3
		.amdhsa_float_denorm_mode_16_64 3
		.amdhsa_dx10_clamp 1
		.amdhsa_ieee_mode 1
		.amdhsa_fp16_overflow 0
		.amdhsa_tg_split 0
		.amdhsa_exception_fp_ieee_invalid_op 0
		.amdhsa_exception_fp_denorm_src 0
		.amdhsa_exception_fp_ieee_div_zero 0
		.amdhsa_exception_fp_ieee_overflow 0
		.amdhsa_exception_fp_ieee_underflow 0
		.amdhsa_exception_fp_ieee_inexact 0
		.amdhsa_exception_int_div_zero 0
	.end_amdhsa_kernel
	.section	.text._Z30addBiasResidualPostLayerNormV2I14__hip_bfloat16Li32EEvPT_PKS1_S4_S4_S4_fi,"axG",@progbits,_Z30addBiasResidualPostLayerNormV2I14__hip_bfloat16Li32EEvPT_PKS1_S4_S4_S4_fi,comdat
.Lfunc_end17:
	.size	_Z30addBiasResidualPostLayerNormV2I14__hip_bfloat16Li32EEvPT_PKS1_S4_S4_S4_fi, .Lfunc_end17-_Z30addBiasResidualPostLayerNormV2I14__hip_bfloat16Li32EEvPT_PKS1_S4_S4_S4_fi
                                        ; -- End function
	.section	.AMDGPU.csdata,"",@progbits
; Kernel info:
; codeLenInByte = 7408
; NumSgprs: 20
; NumVgprs: 31
; NumAgprs: 0
; TotalNumVgprs: 31
; ScratchSize: 0
; MemoryBound: 0
; FloatMode: 240
; IeeeMode: 1
; LDSByteSize: 136 bytes/workgroup (compile time only)
; SGPRBlocks: 2
; VGPRBlocks: 3
; NumSGPRsForWavesPerEU: 20
; NumVGPRsForWavesPerEU: 31
; AccumOffset: 32
; Occupancy: 8
; WaveLimiterHint : 0
; COMPUTE_PGM_RSRC2:SCRATCH_EN: 0
; COMPUTE_PGM_RSRC2:USER_SGPR: 6
; COMPUTE_PGM_RSRC2:TRAP_HANDLER: 0
; COMPUTE_PGM_RSRC2:TGID_X_EN: 1
; COMPUTE_PGM_RSRC2:TGID_Y_EN: 0
; COMPUTE_PGM_RSRC2:TGID_Z_EN: 0
; COMPUTE_PGM_RSRC2:TIDIG_COMP_CNT: 0
; COMPUTE_PGM_RSRC3_GFX90A:ACCUM_OFFSET: 7
; COMPUTE_PGM_RSRC3_GFX90A:TG_SPLIT: 0
	.section	.text._Z28addBiasResidualPostLayerNormI14__hip_bfloat16Li1ELi64EEvPT_PKS1_S4_S4_S4_fi,"axG",@progbits,_Z28addBiasResidualPostLayerNormI14__hip_bfloat16Li1ELi64EEvPT_PKS1_S4_S4_S4_fi,comdat
	.protected	_Z28addBiasResidualPostLayerNormI14__hip_bfloat16Li1ELi64EEvPT_PKS1_S4_S4_S4_fi ; -- Begin function _Z28addBiasResidualPostLayerNormI14__hip_bfloat16Li1ELi64EEvPT_PKS1_S4_S4_S4_fi
	.globl	_Z28addBiasResidualPostLayerNormI14__hip_bfloat16Li1ELi64EEvPT_PKS1_S4_S4_S4_fi
	.p2align	8
	.type	_Z28addBiasResidualPostLayerNormI14__hip_bfloat16Li1ELi64EEvPT_PKS1_S4_S4_S4_fi,@function
_Z28addBiasResidualPostLayerNormI14__hip_bfloat16Li1ELi64EEvPT_PKS1_S4_S4_S4_fi: ; @_Z28addBiasResidualPostLayerNormI14__hip_bfloat16Li1ELi64EEvPT_PKS1_S4_S4_S4_fi
; %bb.0:
	s_load_dwordx2 s[14:15], s[4:5], 0x28
	s_load_dwordx2 s[12:13], s[4:5], 0x0
	s_load_dwordx4 s[8:11], s[4:5], 0x18
	v_mov_b32_e32 v5, 0
	v_lshlrev_b32_e32 v1, 1, v0
	s_waitcnt lgkmcnt(0)
	s_mul_i32 s6, s6, s15
	v_cmp_gt_i32_e64 s[0:1], s15, v0
	v_add_u32_e32 v2, s6, v0
                                        ; implicit-def: $vgpr3
	s_and_saveexec_b64 s[2:3], s[0:1]
	s_cbranch_execz .LBB18_10
; %bb.1:
	s_load_dwordx4 s[16:19], s[4:5], 0x8
	v_mov_b32_e32 v3, 0
	v_lshlrev_b64 v[4:5], 1, v[2:3]
	v_mov_b32_e32 v3, s13
	v_add_co_u32_e32 v6, vcc, s12, v4
	v_addc_co_u32_e32 v7, vcc, v3, v5, vcc
	s_waitcnt lgkmcnt(0)
	v_mov_b32_e32 v3, s17
	v_add_co_u32_e32 v4, vcc, s16, v4
	v_addc_co_u32_e32 v5, vcc, v3, v5, vcc
	global_load_ushort v8, v[6:7], off
	global_load_ushort v9, v[4:5], off
	global_load_ushort v3, v1, s[18:19]
	s_mov_b32 s6, 0x7f800000
	s_waitcnt vmcnt(2)
	v_lshlrev_b32_e32 v4, 16, v8
	s_waitcnt vmcnt(1)
	v_lshlrev_b32_e32 v6, 16, v9
	v_pk_add_f32 v[4:5], v[6:7], v[4:5] op_sel_hi:[0,1]
	v_and_b32_e32 v5, 0x7f800000, v4
	v_cmp_ne_u32_e32 vcc, s6, v5
                                        ; implicit-def: $vgpr6
	s_and_saveexec_b64 s[6:7], vcc
	s_xor_b64 s[6:7], exec, s[6:7]
; %bb.2:
	v_bfe_u32 v5, v4, 16, 1
	s_movk_i32 s16, 0x7fff
	v_add3_u32 v6, v4, v5, s16
                                        ; implicit-def: $vgpr4_vgpr5
; %bb.3:
	s_andn2_saveexec_b64 s[6:7], s[6:7]
; %bb.4:
	v_mov_b32_e32 v5, 0
	v_or_b32_e32 v6, 0x10000, v4
	v_cmp_eq_u32_sdwa vcc, v4, v5 src0_sel:WORD_0 src1_sel:DWORD
	v_cndmask_b32_e32 v6, v6, v4, vcc
; %bb.5:
	s_or_b64 exec, exec, s[6:7]
	v_and_b32_e32 v4, 0xffff0000, v6
	s_waitcnt vmcnt(0)
	v_lshlrev_b32_e32 v3, 16, v3
	v_add_f32_e32 v3, v3, v4
	s_mov_b32 s6, 0x7f800000
	v_and_b32_e32 v4, 0x7f800000, v3
	v_cmp_ne_u32_e32 vcc, s6, v4
                                        ; implicit-def: $vgpr4
	s_and_saveexec_b64 s[6:7], vcc
	s_xor_b64 s[6:7], exec, s[6:7]
; %bb.6:
	v_bfe_u32 v4, v3, 16, 1
	s_movk_i32 s16, 0x7fff
	v_add3_u32 v4, v3, v4, s16
                                        ; implicit-def: $vgpr3
; %bb.7:
	s_andn2_saveexec_b64 s[6:7], s[6:7]
; %bb.8:
	v_mov_b32_e32 v4, 0
	v_or_b32_e32 v5, 0x10000, v3
	v_cmp_eq_u32_sdwa vcc, v3, v4 src0_sel:WORD_0 src1_sel:DWORD
	v_cndmask_b32_e32 v4, v5, v3, vcc
; %bb.9:
	s_or_b64 exec, exec, s[6:7]
	v_and_b32_e32 v3, 0xffff0000, v4
	v_add_f32_e32 v5, 0, v3
.LBB18_10:
	s_or_b64 exec, exec, s[2:3]
	v_mbcnt_lo_u32_b32 v4, -1, 0
	v_mbcnt_hi_u32_b32 v9, -1, v4
	v_and_b32_e32 v4, 64, v9
	v_add_u32_e32 v10, 64, v4
	v_xor_b32_e32 v4, 32, v9
	v_cmp_lt_i32_e32 vcc, v4, v10
	v_cndmask_b32_e32 v4, v9, v4, vcc
	v_lshlrev_b32_e32 v4, 2, v4
	ds_bpermute_b32 v6, v4, v5
	v_xor_b32_e32 v7, 16, v9
	v_cmp_lt_i32_e32 vcc, v7, v10
	v_xor_b32_e32 v8, 8, v9
	v_xor_b32_e32 v11, 4, v9
	s_waitcnt lgkmcnt(0)
	v_add_f32_e32 v6, v5, v6
	v_cndmask_b32_e32 v5, v9, v7, vcc
	v_lshlrev_b32_e32 v5, 2, v5
	ds_bpermute_b32 v7, v5, v6
	v_cmp_lt_i32_e32 vcc, v8, v10
	v_xor_b32_e32 v12, 2, v9
	v_xor_b32_e32 v13, 1, v9
	s_waitcnt lgkmcnt(0)
	v_add_f32_e32 v7, v6, v7
	v_cndmask_b32_e32 v6, v9, v8, vcc
	v_lshlrev_b32_e32 v6, 2, v6
	ds_bpermute_b32 v8, v6, v7
	v_cmp_lt_i32_e32 vcc, v11, v10
	s_waitcnt lgkmcnt(0)
	v_add_f32_e32 v8, v7, v8
	v_cndmask_b32_e32 v7, v9, v11, vcc
	v_lshlrev_b32_e32 v7, 2, v7
	ds_bpermute_b32 v11, v7, v8
	v_cmp_lt_i32_e32 vcc, v12, v10
	;; [unrolled: 6-line block ×3, first 2 shown]
	v_cndmask_b32_e32 v9, v9, v13, vcc
	v_lshlrev_b32_e32 v9, 2, v9
	v_and_b32_e32 v10, 63, v0
	s_waitcnt lgkmcnt(0)
	v_add_f32_e32 v12, v11, v12
	ds_bpermute_b32 v13, v9, v12
	v_cmp_eq_u32_e64 s[2:3], 0, v10
	v_lshrrev_b32_e32 v11, 4, v0
	s_and_saveexec_b64 s[6:7], s[2:3]
	s_cbranch_execz .LBB18_12
; %bb.11:
	s_waitcnt lgkmcnt(0)
	v_add_f32_e32 v12, v12, v13
	ds_write_b32 v11, v12
.LBB18_12:
	s_or_b64 exec, exec, s[6:7]
	s_waitcnt lgkmcnt(0)
	s_barrier
	s_load_dword s4, s[4:5], 0x3c
	v_mov_b32_e32 v13, 0
	v_lshlrev_b32_e32 v12, 2, v10
	s_waitcnt lgkmcnt(0)
	s_bfe_u32 s4, s4, 0xa0006
	v_cmp_gt_u32_e64 s[4:5], s4, v0
	s_and_saveexec_b64 s[6:7], s[4:5]
	s_cbranch_execz .LBB18_14
; %bb.13:
	ds_read_b32 v13, v12
.LBB18_14:
	s_or_b64 exec, exec, s[6:7]
	s_waitcnt lgkmcnt(0)
	ds_bpermute_b32 v10, v4, v13
	v_cmp_eq_u32_e64 s[6:7], 0, v0
	s_waitcnt lgkmcnt(0)
	v_add_f32_e32 v10, v13, v10
	ds_bpermute_b32 v13, v5, v10
	s_waitcnt lgkmcnt(0)
	v_add_f32_e32 v10, v10, v13
	ds_bpermute_b32 v13, v6, v10
	;; [unrolled: 3-line block ×5, first 2 shown]
	v_cvt_f32_i32_e32 v10, s15
	s_and_saveexec_b64 s[16:17], s[6:7]
	s_cbranch_execz .LBB18_16
; %bb.15:
	s_waitcnt lgkmcnt(0)
	v_add_f32_e32 v0, v13, v14
	v_div_scale_f32 v13, s[18:19], v10, v10, v0
	v_rcp_f32_e32 v14, v13
	v_div_scale_f32 v15, vcc, v0, v10, v0
	v_fma_f32 v16, -v13, v14, 1.0
	v_fmac_f32_e32 v14, v16, v14
	v_mul_f32_e32 v16, v15, v14
	v_fma_f32 v17, -v13, v16, v15
	v_fmac_f32_e32 v16, v17, v14
	v_fma_f32 v13, -v13, v16, v15
	v_div_fmas_f32 v13, v13, v14, v16
	v_div_fixup_f32 v0, v13, v10, v0
	v_mov_b32_e32 v13, 0
	ds_write_b32 v13, v0 offset:68
.LBB18_16:
	s_or_b64 exec, exec, s[16:17]
	v_mov_b32_e32 v0, 0
	s_waitcnt lgkmcnt(0)
	s_barrier
	ds_read_b32 v13, v0 offset:68
	s_waitcnt lgkmcnt(0)
	v_sub_f32_e32 v13, v3, v13
	v_mul_f32_e32 v13, v13, v13
	v_cndmask_b32_e64 v13, 0, v13, s[0:1]
	ds_bpermute_b32 v14, v4, v13
	s_waitcnt lgkmcnt(0)
	v_add_f32_e32 v13, v13, v14
	ds_bpermute_b32 v14, v5, v13
	s_waitcnt lgkmcnt(0)
	v_add_f32_e32 v13, v13, v14
	;; [unrolled: 3-line block ×5, first 2 shown]
	ds_bpermute_b32 v14, v9, v13
	s_and_saveexec_b64 s[16:17], s[2:3]
	s_cbranch_execz .LBB18_18
; %bb.17:
	s_waitcnt lgkmcnt(0)
	v_add_f32_e32 v13, v13, v14
	ds_write_b32 v11, v13
.LBB18_18:
	s_or_b64 exec, exec, s[16:17]
	s_waitcnt lgkmcnt(0)
	s_barrier
	s_and_saveexec_b64 s[2:3], s[4:5]
	s_cbranch_execz .LBB18_20
; %bb.19:
	ds_read_b32 v0, v12
.LBB18_20:
	s_or_b64 exec, exec, s[2:3]
	s_waitcnt lgkmcnt(0)
	ds_bpermute_b32 v4, v4, v0
	s_waitcnt lgkmcnt(0)
	v_add_f32_e32 v0, v0, v4
	ds_bpermute_b32 v4, v5, v0
	s_waitcnt lgkmcnt(0)
	v_add_f32_e32 v0, v0, v4
	;; [unrolled: 3-line block ×5, first 2 shown]
	ds_bpermute_b32 v4, v9, v0
	s_and_saveexec_b64 s[2:3], s[6:7]
	s_cbranch_execz .LBB18_22
; %bb.21:
	s_waitcnt lgkmcnt(0)
	v_add_f32_e32 v0, v0, v4
	v_div_scale_f32 v4, s[4:5], v10, v10, v0
	v_rcp_f32_e32 v5, v4
	v_div_scale_f32 v6, vcc, v0, v10, v0
	v_fma_f32 v7, -v4, v5, 1.0
	v_fmac_f32_e32 v5, v7, v5
	v_mul_f32_e32 v7, v6, v5
	v_fma_f32 v8, -v4, v7, v6
	v_fmac_f32_e32 v7, v8, v5
	v_fma_f32 v4, -v4, v7, v6
	v_div_fmas_f32 v4, v4, v5, v7
	v_div_fixup_f32 v0, v4, v10, v0
	v_add_f32_e32 v0, s14, v0
	v_mov_b32_e32 v4, 0
	ds_write_b32 v4, v0 offset:64
.LBB18_22:
	s_or_b64 exec, exec, s[2:3]
	s_waitcnt lgkmcnt(0)
	s_barrier
	s_and_saveexec_b64 s[2:3], s[0:1]
	s_cbranch_execz .LBB18_28
; %bb.23:
	global_load_ushort v4, v1, s[8:9]
	global_load_ushort v5, v1, s[10:11]
	v_mov_b32_e32 v0, 0
	ds_read_b64 v[0:1], v0 offset:64
	s_mov_b32 s0, 0x800000
	s_waitcnt lgkmcnt(0)
	v_mul_f32_e32 v6, 0x4b800000, v0
	v_cmp_gt_f32_e32 vcc, s0, v0
	v_cndmask_b32_e32 v0, v0, v6, vcc
	v_rsq_f32_e32 v0, v0
	v_sub_f32_e32 v1, v3, v1
	s_mov_b32 s0, 0x7f800000
	v_mul_f32_e32 v3, 0x45800000, v0
	v_cndmask_b32_e32 v0, v0, v3, vcc
	v_mul_f32_e32 v0, v1, v0
	s_waitcnt vmcnt(1)
	v_lshlrev_b32_e32 v3, 16, v4
	s_waitcnt vmcnt(0)
	v_lshlrev_b32_e32 v1, 16, v5
	v_fmac_f32_e32 v1, v0, v3
	v_and_b32_e32 v0, 0x7f800000, v1
	v_cmp_ne_u32_e32 vcc, s0, v0
                                        ; implicit-def: $vgpr0
	s_and_saveexec_b64 s[0:1], vcc
	s_xor_b64 s[0:1], exec, s[0:1]
; %bb.24:
	v_bfe_u32 v0, v1, 16, 1
	s_movk_i32 s2, 0x7fff
	v_add3_u32 v0, v1, v0, s2
                                        ; implicit-def: $vgpr1
; %bb.25:
	s_andn2_saveexec_b64 s[0:1], s[0:1]
; %bb.26:
	v_mov_b32_e32 v0, 0
	v_or_b32_e32 v3, 0x10000, v1
	v_cmp_eq_u32_sdwa vcc, v1, v0 src0_sel:WORD_0 src1_sel:DWORD
	v_cndmask_b32_e32 v0, v3, v1, vcc
; %bb.27:
	s_or_b64 exec, exec, s[0:1]
	v_mov_b32_e32 v3, 0
	v_lshlrev_b64 v[2:3], 1, v[2:3]
	v_mov_b32_e32 v1, s13
	v_add_co_u32_e32 v2, vcc, s12, v2
	v_addc_co_u32_e32 v3, vcc, v1, v3, vcc
	global_store_short_d16_hi v[2:3], v0, off
.LBB18_28:
	s_endpgm
	.section	.rodata,"a",@progbits
	.p2align	6, 0x0
	.amdhsa_kernel _Z28addBiasResidualPostLayerNormI14__hip_bfloat16Li1ELi64EEvPT_PKS1_S4_S4_S4_fi
		.amdhsa_group_segment_fixed_size 72
		.amdhsa_private_segment_fixed_size 0
		.amdhsa_kernarg_size 304
		.amdhsa_user_sgpr_count 6
		.amdhsa_user_sgpr_private_segment_buffer 1
		.amdhsa_user_sgpr_dispatch_ptr 0
		.amdhsa_user_sgpr_queue_ptr 0
		.amdhsa_user_sgpr_kernarg_segment_ptr 1
		.amdhsa_user_sgpr_dispatch_id 0
		.amdhsa_user_sgpr_flat_scratch_init 0
		.amdhsa_user_sgpr_kernarg_preload_length 0
		.amdhsa_user_sgpr_kernarg_preload_offset 0
		.amdhsa_user_sgpr_private_segment_size 0
		.amdhsa_uses_dynamic_stack 0
		.amdhsa_system_sgpr_private_segment_wavefront_offset 0
		.amdhsa_system_sgpr_workgroup_id_x 1
		.amdhsa_system_sgpr_workgroup_id_y 0
		.amdhsa_system_sgpr_workgroup_id_z 0
		.amdhsa_system_sgpr_workgroup_info 0
		.amdhsa_system_vgpr_workitem_id 0
		.amdhsa_next_free_vgpr 18
		.amdhsa_next_free_sgpr 20
		.amdhsa_accum_offset 20
		.amdhsa_reserve_vcc 1
		.amdhsa_reserve_flat_scratch 0
		.amdhsa_float_round_mode_32 0
		.amdhsa_float_round_mode_16_64 0
		.amdhsa_float_denorm_mode_32 3
		.amdhsa_float_denorm_mode_16_64 3
		.amdhsa_dx10_clamp 1
		.amdhsa_ieee_mode 1
		.amdhsa_fp16_overflow 0
		.amdhsa_tg_split 0
		.amdhsa_exception_fp_ieee_invalid_op 0
		.amdhsa_exception_fp_denorm_src 0
		.amdhsa_exception_fp_ieee_div_zero 0
		.amdhsa_exception_fp_ieee_overflow 0
		.amdhsa_exception_fp_ieee_underflow 0
		.amdhsa_exception_fp_ieee_inexact 0
		.amdhsa_exception_int_div_zero 0
	.end_amdhsa_kernel
	.section	.text._Z28addBiasResidualPostLayerNormI14__hip_bfloat16Li1ELi64EEvPT_PKS1_S4_S4_S4_fi,"axG",@progbits,_Z28addBiasResidualPostLayerNormI14__hip_bfloat16Li1ELi64EEvPT_PKS1_S4_S4_S4_fi,comdat
.Lfunc_end18:
	.size	_Z28addBiasResidualPostLayerNormI14__hip_bfloat16Li1ELi64EEvPT_PKS1_S4_S4_S4_fi, .Lfunc_end18-_Z28addBiasResidualPostLayerNormI14__hip_bfloat16Li1ELi64EEvPT_PKS1_S4_S4_S4_fi
                                        ; -- End function
	.section	.AMDGPU.csdata,"",@progbits
; Kernel info:
; codeLenInByte = 1492
; NumSgprs: 24
; NumVgprs: 18
; NumAgprs: 0
; TotalNumVgprs: 18
; ScratchSize: 0
; MemoryBound: 0
; FloatMode: 240
; IeeeMode: 1
; LDSByteSize: 72 bytes/workgroup (compile time only)
; SGPRBlocks: 2
; VGPRBlocks: 2
; NumSGPRsForWavesPerEU: 24
; NumVGPRsForWavesPerEU: 18
; AccumOffset: 20
; Occupancy: 8
; WaveLimiterHint : 0
; COMPUTE_PGM_RSRC2:SCRATCH_EN: 0
; COMPUTE_PGM_RSRC2:USER_SGPR: 6
; COMPUTE_PGM_RSRC2:TRAP_HANDLER: 0
; COMPUTE_PGM_RSRC2:TGID_X_EN: 1
; COMPUTE_PGM_RSRC2:TGID_Y_EN: 0
; COMPUTE_PGM_RSRC2:TGID_Z_EN: 0
; COMPUTE_PGM_RSRC2:TIDIG_COMP_CNT: 0
; COMPUTE_PGM_RSRC3_GFX90A:ACCUM_OFFSET: 4
; COMPUTE_PGM_RSRC3_GFX90A:TG_SPLIT: 0
	.section	.text._Z28addBiasResidualPostLayerNormI14__hip_bfloat16Li2ELi64EEvPT_PKS1_S4_S4_S4_fi,"axG",@progbits,_Z28addBiasResidualPostLayerNormI14__hip_bfloat16Li2ELi64EEvPT_PKS1_S4_S4_S4_fi,comdat
	.protected	_Z28addBiasResidualPostLayerNormI14__hip_bfloat16Li2ELi64EEvPT_PKS1_S4_S4_S4_fi ; -- Begin function _Z28addBiasResidualPostLayerNormI14__hip_bfloat16Li2ELi64EEvPT_PKS1_S4_S4_S4_fi
	.globl	_Z28addBiasResidualPostLayerNormI14__hip_bfloat16Li2ELi64EEvPT_PKS1_S4_S4_S4_fi
	.p2align	8
	.type	_Z28addBiasResidualPostLayerNormI14__hip_bfloat16Li2ELi64EEvPT_PKS1_S4_S4_S4_fi,@function
_Z28addBiasResidualPostLayerNormI14__hip_bfloat16Li2ELi64EEvPT_PKS1_S4_S4_S4_fi: ; @_Z28addBiasResidualPostLayerNormI14__hip_bfloat16Li2ELi64EEvPT_PKS1_S4_S4_S4_fi
; %bb.0:
	s_load_dwordx2 s[18:19], s[4:5], 0x28
	s_load_dwordx2 s[16:17], s[4:5], 0x0
	s_load_dwordx4 s[8:11], s[4:5], 0x18
	v_mov_b32_e32 v3, 0
	v_lshlrev_b32_e32 v8, 1, v0
	s_waitcnt lgkmcnt(0)
	s_mul_i32 s20, s6, s19
	v_cmp_gt_i32_e64 s[0:1], s19, v0
	v_add_u32_e32 v2, s20, v0
                                        ; implicit-def: $vgpr5
	s_and_saveexec_b64 s[2:3], s[0:1]
	s_cbranch_execz .LBB19_20
; %bb.1:
	s_load_dwordx4 s[12:15], s[4:5], 0x8
	v_mov_b32_e32 v3, 0
	v_lshlrev_b64 v[4:5], 1, v[2:3]
	v_mov_b32_e32 v1, s17
	v_add_co_u32_e32 v6, vcc, s16, v4
	v_addc_co_u32_e32 v7, vcc, v1, v5, vcc
	s_waitcnt lgkmcnt(0)
	v_mov_b32_e32 v1, s13
	v_add_co_u32_e32 v4, vcc, s12, v4
	v_addc_co_u32_e32 v5, vcc, v1, v5, vcc
	global_load_ushort v3, v[6:7], off
	global_load_ushort v9, v[4:5], off
	global_load_ushort v1, v8, s[14:15]
	s_mov_b32 s6, 0x7f800000
	s_waitcnt vmcnt(2)
	v_lshlrev_b32_e32 v4, 16, v3
	s_waitcnt vmcnt(1)
	v_lshlrev_b32_e32 v6, 16, v9
	v_pk_add_f32 v[4:5], v[6:7], v[4:5] op_sel_hi:[0,1]
	v_and_b32_e32 v3, 0x7f800000, v4
	v_cmp_ne_u32_e32 vcc, s6, v3
                                        ; implicit-def: $vgpr3
	s_and_saveexec_b64 s[6:7], vcc
	s_xor_b64 s[6:7], exec, s[6:7]
; %bb.2:
	v_bfe_u32 v3, v4, 16, 1
	s_movk_i32 s21, 0x7fff
	v_add3_u32 v3, v4, v3, s21
                                        ; implicit-def: $vgpr4_vgpr5
; %bb.3:
	s_andn2_saveexec_b64 s[6:7], s[6:7]
; %bb.4:
	v_mov_b32_e32 v3, 0
	v_or_b32_e32 v5, 0x10000, v4
	v_cmp_eq_u32_sdwa vcc, v4, v3 src0_sel:WORD_0 src1_sel:DWORD
	v_cndmask_b32_e32 v3, v5, v4, vcc
; %bb.5:
	s_or_b64 exec, exec, s[6:7]
	v_and_b32_e32 v3, 0xffff0000, v3
	s_waitcnt vmcnt(0)
	v_lshlrev_b32_e32 v1, 16, v1
	v_add_f32_e32 v1, v1, v3
	s_mov_b32 s6, 0x7f800000
	v_and_b32_e32 v3, 0x7f800000, v1
	v_cmp_ne_u32_e32 vcc, s6, v3
                                        ; implicit-def: $vgpr3
	s_and_saveexec_b64 s[6:7], vcc
	s_xor_b64 s[6:7], exec, s[6:7]
; %bb.6:
	v_bfe_u32 v3, v1, 16, 1
	s_movk_i32 s21, 0x7fff
	v_add3_u32 v3, v1, v3, s21
                                        ; implicit-def: $vgpr1
; %bb.7:
	s_or_saveexec_b64 s[6:7], s[6:7]
	s_load_dword s21, s[4:5], 0x3c
	s_xor_b64 exec, exec, s[6:7]
; %bb.8:
	v_mov_b32_e32 v3, 0
	v_or_b32_e32 v4, 0x10000, v1
	v_cmp_eq_u32_sdwa vcc, v1, v3 src0_sel:WORD_0 src1_sel:DWORD
	v_cndmask_b32_e32 v3, v4, v1, vcc
; %bb.9:
	s_or_b64 exec, exec, s[6:7]
	s_waitcnt lgkmcnt(0)
	s_and_b32 s21, 0xffff, s21
	v_and_b32_e32 v4, 0xffff0000, v3
	v_add_u32_e32 v1, s21, v0
	v_add_f32_e32 v3, 0, v4
	v_cmp_gt_u32_e32 vcc, s19, v1
	s_and_saveexec_b64 s[6:7], vcc
	s_cbranch_execz .LBB19_19
; %bb.10:
	v_mov_b32_e32 v5, s15
	v_add_co_u32_e32 v9, vcc, s14, v8
	v_add_u32_e32 v6, s20, v1
	v_mov_b32_e32 v7, 0
	v_addc_co_u32_e32 v5, vcc, 0, v5, vcc
	v_lshlrev_b64 v[6:7], 1, v[6:7]
	v_mov_b32_e32 v1, s17
	v_add_co_u32_e32 v10, vcc, s16, v6
	v_addc_co_u32_e32 v11, vcc, v1, v7, vcc
	v_mov_b32_e32 v1, s13
	v_add_co_u32_e32 v6, vcc, s12, v6
	v_addc_co_u32_e32 v7, vcc, v1, v7, vcc
	global_load_ushort v12, v[6:7], off
	global_load_ushort v13, v[10:11], off
	s_lshl_b32 s12, s21, 1
	v_add_co_u32_e32 v6, vcc, s12, v9
	v_addc_co_u32_e32 v7, vcc, 0, v5, vcc
	global_load_ushort v1, v[6:7], off
	s_mov_b32 s12, 0x7f800000
	s_waitcnt vmcnt(2)
	v_lshlrev_b32_e32 v6, 16, v12
	s_waitcnt vmcnt(1)
	v_lshlrev_b32_e32 v10, 16, v13
	v_pk_add_f32 v[6:7], v[6:7], v[10:11] op_sel_hi:[0,1]
	v_and_b32_e32 v5, 0x7f800000, v6
	v_cmp_ne_u32_e32 vcc, s12, v5
                                        ; implicit-def: $vgpr5
	s_and_saveexec_b64 s[12:13], vcc
	s_xor_b64 s[12:13], exec, s[12:13]
; %bb.11:
	v_bfe_u32 v5, v6, 16, 1
	s_movk_i32 s14, 0x7fff
	v_add3_u32 v5, v6, v5, s14
                                        ; implicit-def: $vgpr6_vgpr7
; %bb.12:
	s_andn2_saveexec_b64 s[12:13], s[12:13]
; %bb.13:
	v_mov_b32_e32 v5, 0
	v_or_b32_e32 v7, 0x10000, v6
	v_cmp_eq_u32_sdwa vcc, v6, v5 src0_sel:WORD_0 src1_sel:DWORD
	v_cndmask_b32_e32 v5, v7, v6, vcc
; %bb.14:
	s_or_b64 exec, exec, s[12:13]
	v_and_b32_e32 v5, 0xffff0000, v5
	s_waitcnt vmcnt(0)
	v_lshlrev_b32_e32 v1, 16, v1
	v_add_f32_e32 v1, v1, v5
	s_mov_b32 s12, 0x7f800000
	v_and_b32_e32 v5, 0x7f800000, v1
	v_cmp_ne_u32_e32 vcc, s12, v5
                                        ; implicit-def: $vgpr5
	s_and_saveexec_b64 s[12:13], vcc
	s_xor_b64 s[12:13], exec, s[12:13]
; %bb.15:
	v_bfe_u32 v5, v1, 16, 1
	s_movk_i32 s14, 0x7fff
	v_add3_u32 v5, v1, v5, s14
                                        ; implicit-def: $vgpr1
; %bb.16:
	s_andn2_saveexec_b64 s[12:13], s[12:13]
; %bb.17:
	v_mov_b32_e32 v5, 0
	v_or_b32_e32 v6, 0x10000, v1
	v_cmp_eq_u32_sdwa vcc, v1, v5 src0_sel:WORD_0 src1_sel:DWORD
	v_cndmask_b32_e32 v5, v6, v1, vcc
; %bb.18:
	s_or_b64 exec, exec, s[12:13]
	v_and_b32_e32 v5, 0xffff0000, v5
	v_add_f32_e32 v3, v3, v5
.LBB19_19:
	s_or_b64 exec, exec, s[6:7]
.LBB19_20:
	s_or_b64 exec, exec, s[2:3]
	v_mbcnt_lo_u32_b32 v1, -1, 0
	v_mbcnt_hi_u32_b32 v6, -1, v1
	v_and_b32_e32 v1, 64, v6
	v_add_u32_e32 v11, 64, v1
	v_xor_b32_e32 v1, 32, v6
	v_cmp_lt_i32_e32 vcc, v1, v11
	v_cndmask_b32_e32 v1, v6, v1, vcc
	v_lshlrev_b32_e32 v1, 2, v1
	ds_bpermute_b32 v7, v1, v3
	v_xor_b32_e32 v9, 16, v6
	v_cmp_lt_i32_e32 vcc, v9, v11
	v_xor_b32_e32 v10, 8, v6
	v_xor_b32_e32 v12, 4, v6
	s_waitcnt lgkmcnt(0)
	v_add_f32_e32 v7, v3, v7
	v_cndmask_b32_e32 v3, v6, v9, vcc
	v_lshlrev_b32_e32 v3, 2, v3
	ds_bpermute_b32 v9, v3, v7
	v_cmp_lt_i32_e32 vcc, v10, v11
	v_xor_b32_e32 v13, 2, v6
	v_xor_b32_e32 v14, 1, v6
	s_waitcnt lgkmcnt(0)
	v_add_f32_e32 v9, v7, v9
	v_cndmask_b32_e32 v7, v6, v10, vcc
	v_lshlrev_b32_e32 v7, 2, v7
	ds_bpermute_b32 v10, v7, v9
	v_cmp_lt_i32_e32 vcc, v12, v11
	s_waitcnt lgkmcnt(0)
	v_add_f32_e32 v10, v9, v10
	v_cndmask_b32_e32 v9, v6, v12, vcc
	v_lshlrev_b32_e32 v9, 2, v9
	ds_bpermute_b32 v12, v9, v10
	v_cmp_lt_i32_e32 vcc, v13, v11
	;; [unrolled: 6-line block ×3, first 2 shown]
	v_cndmask_b32_e32 v6, v6, v14, vcc
	v_lshlrev_b32_e32 v11, 2, v6
	v_and_b32_e32 v6, 63, v0
	s_waitcnt lgkmcnt(0)
	v_add_f32_e32 v12, v12, v13
	ds_bpermute_b32 v14, v11, v12
	v_cmp_eq_u32_e64 s[2:3], 0, v6
	v_lshrrev_b32_e32 v13, 4, v0
	s_and_saveexec_b64 s[6:7], s[2:3]
	s_cbranch_execz .LBB19_22
; %bb.21:
	s_waitcnt lgkmcnt(0)
	v_add_f32_e32 v12, v12, v14
	ds_write_b32 v13, v12
.LBB19_22:
	s_or_b64 exec, exec, s[6:7]
	s_waitcnt lgkmcnt(0)
	s_barrier
	s_load_dword s12, s[4:5], 0x3c
	v_mov_b32_e32 v12, 0
	v_lshlrev_b32_e32 v14, 2, v6
	s_waitcnt lgkmcnt(0)
	s_bfe_u32 s4, s12, 0xa0006
	v_cmp_gt_u32_e64 s[4:5], s4, v0
	s_and_saveexec_b64 s[6:7], s[4:5]
	s_cbranch_execz .LBB19_24
; %bb.23:
	ds_read_b32 v12, v14
.LBB19_24:
	s_or_b64 exec, exec, s[6:7]
	s_waitcnt lgkmcnt(0)
	ds_bpermute_b32 v6, v1, v12
	s_and_b32 s14, s12, 0xffff
	v_cmp_eq_u32_e64 s[6:7], 0, v0
	s_waitcnt lgkmcnt(0)
	v_add_f32_e32 v6, v12, v6
	ds_bpermute_b32 v12, v3, v6
	s_waitcnt lgkmcnt(0)
	v_add_f32_e32 v6, v6, v12
	ds_bpermute_b32 v12, v7, v6
	;; [unrolled: 3-line block ×5, first 2 shown]
	v_cvt_f32_i32_e32 v12, s19
	s_and_saveexec_b64 s[12:13], s[6:7]
	s_cbranch_execz .LBB19_26
; %bb.25:
	s_waitcnt lgkmcnt(0)
	v_add_f32_e32 v6, v6, v15
	v_div_scale_f32 v15, s[22:23], v12, v12, v6
	v_rcp_f32_e32 v16, v15
	v_div_scale_f32 v17, vcc, v6, v12, v6
	v_fma_f32 v18, -v15, v16, 1.0
	v_fmac_f32_e32 v16, v18, v16
	v_mul_f32_e32 v18, v17, v16
	v_fma_f32 v19, -v15, v18, v17
	v_fmac_f32_e32 v18, v19, v16
	v_fma_f32 v15, -v15, v18, v17
	v_div_fmas_f32 v15, v15, v16, v18
	v_div_fixup_f32 v6, v15, v12, v6
	v_mov_b32_e32 v15, 0
	ds_write_b32 v15, v6 offset:68
.LBB19_26:
	s_or_b64 exec, exec, s[12:13]
	s_waitcnt lgkmcnt(0)
	v_mov_b32_e32 v15, 0
	v_add_u32_e32 v6, s14, v0
	s_barrier
	s_and_saveexec_b64 s[12:13], s[0:1]
	s_cbranch_execz .LBB19_28
; %bb.27:
	v_mov_b32_e32 v0, 0
	ds_read_b32 v0, v0 offset:68
	v_cmp_gt_u32_e32 vcc, s19, v6
	s_waitcnt lgkmcnt(0)
	v_pk_add_f32 v[16:17], v[4:5], v[0:1] op_sel_hi:[1,0] neg_lo:[0,1] neg_hi:[0,1]
	v_pk_mul_f32 v[16:17], v[16:17], v[16:17]
	v_add_f32_e32 v0, v16, v17
	v_cndmask_b32_e32 v15, v16, v0, vcc
.LBB19_28:
	s_or_b64 exec, exec, s[12:13]
	ds_bpermute_b32 v0, v1, v15
	s_waitcnt lgkmcnt(0)
	v_add_f32_e32 v0, v15, v0
	ds_bpermute_b32 v15, v3, v0
	s_waitcnt lgkmcnt(0)
	v_add_f32_e32 v0, v0, v15
	;; [unrolled: 3-line block ×5, first 2 shown]
	ds_bpermute_b32 v15, v11, v0
	s_and_saveexec_b64 s[12:13], s[2:3]
	s_cbranch_execz .LBB19_30
; %bb.29:
	s_waitcnt lgkmcnt(0)
	v_add_f32_e32 v0, v0, v15
	ds_write_b32 v13, v0
.LBB19_30:
	s_or_b64 exec, exec, s[12:13]
	v_mov_b32_e32 v0, 0
	s_waitcnt lgkmcnt(0)
	s_barrier
	s_and_saveexec_b64 s[2:3], s[4:5]
	s_cbranch_execz .LBB19_32
; %bb.31:
	ds_read_b32 v0, v14
.LBB19_32:
	s_or_b64 exec, exec, s[2:3]
	s_waitcnt lgkmcnt(0)
	ds_bpermute_b32 v1, v1, v0
	s_waitcnt lgkmcnt(0)
	v_add_f32_e32 v0, v0, v1
	ds_bpermute_b32 v1, v3, v0
	s_waitcnt lgkmcnt(0)
	v_add_f32_e32 v0, v0, v1
	;; [unrolled: 3-line block ×5, first 2 shown]
	ds_bpermute_b32 v1, v11, v0
	s_and_saveexec_b64 s[2:3], s[6:7]
	s_cbranch_execz .LBB19_34
; %bb.33:
	s_waitcnt lgkmcnt(0)
	v_add_f32_e32 v0, v0, v1
	v_div_scale_f32 v1, s[4:5], v12, v12, v0
	v_rcp_f32_e32 v3, v1
	v_div_scale_f32 v7, vcc, v0, v12, v0
	v_fma_f32 v9, -v1, v3, 1.0
	v_fmac_f32_e32 v3, v9, v3
	v_mul_f32_e32 v9, v7, v3
	v_fma_f32 v10, -v1, v9, v7
	v_fmac_f32_e32 v9, v10, v3
	v_fma_f32 v1, -v1, v9, v7
	v_div_fmas_f32 v1, v1, v3, v9
	v_div_fixup_f32 v0, v1, v12, v0
	v_add_f32_e32 v0, s18, v0
	v_mov_b32_e32 v1, 0
	ds_write_b32 v1, v0 offset:64
.LBB19_34:
	s_or_b64 exec, exec, s[2:3]
	s_waitcnt lgkmcnt(0)
	s_barrier
	s_and_saveexec_b64 s[2:3], s[0:1]
	s_cbranch_execz .LBB19_45
; %bb.35:
	global_load_ushort v3, v8, s[8:9]
	global_load_ushort v7, v8, s[10:11]
	v_mov_b32_e32 v0, 0
	ds_read_b64 v[0:1], v0 offset:64
	s_mov_b32 s0, 0x800000
	s_waitcnt lgkmcnt(0)
	v_mul_f32_e32 v9, 0x4b800000, v0
	v_cmp_gt_f32_e32 vcc, s0, v0
	v_cndmask_b32_e32 v0, v0, v9, vcc
	v_rsq_f32_e32 v0, v0
	v_sub_f32_e32 v4, v4, v1
	s_mov_b32 s0, 0x7f800000
	v_mul_f32_e32 v9, 0x45800000, v0
	v_cndmask_b32_e32 v0, v0, v9, vcc
	v_mul_f32_e32 v4, v4, v0
	s_waitcnt vmcnt(1)
	v_lshlrev_b32_e32 v9, 16, v3
	s_waitcnt vmcnt(0)
	v_lshlrev_b32_e32 v3, 16, v7
	v_fmac_f32_e32 v3, v4, v9
	v_and_b32_e32 v4, 0x7f800000, v3
	v_cmp_ne_u32_e32 vcc, s0, v4
                                        ; implicit-def: $vgpr4
	s_and_saveexec_b64 s[0:1], vcc
	s_xor_b64 s[0:1], exec, s[0:1]
; %bb.36:
	v_bfe_u32 v4, v3, 16, 1
	s_movk_i32 s2, 0x7fff
	v_add3_u32 v4, v3, v4, s2
                                        ; implicit-def: $vgpr3
; %bb.37:
	s_andn2_saveexec_b64 s[0:1], s[0:1]
; %bb.38:
	v_mov_b32_e32 v4, 0
	v_or_b32_e32 v7, 0x10000, v3
	v_cmp_eq_u32_sdwa vcc, v3, v4 src0_sel:WORD_0 src1_sel:DWORD
	v_cndmask_b32_e32 v4, v7, v3, vcc
; %bb.39:
	s_or_b64 exec, exec, s[0:1]
	v_mov_b32_e32 v3, 0
	v_lshlrev_b64 v[2:3], 1, v[2:3]
	v_mov_b32_e32 v7, s17
	v_add_co_u32_e32 v2, vcc, s16, v2
	v_addc_co_u32_e32 v3, vcc, v7, v3, vcc
	v_cmp_gt_u32_e32 vcc, s19, v6
	global_store_short_d16_hi v[2:3], v4, off
	s_and_b64 exec, exec, vcc
	s_cbranch_execz .LBB19_45
; %bb.40:
	v_mov_b32_e32 v2, s9
	v_add_co_u32_e32 v4, vcc, s8, v8
	v_addc_co_u32_e32 v7, vcc, 0, v2, vcc
	v_mov_b32_e32 v3, s11
	v_add_co_u32_e32 v8, vcc, s10, v8
	v_addc_co_u32_e32 v9, vcc, 0, v3, vcc
	s_lshl_b32 s0, s14, 1
	v_add_co_u32_e32 v2, vcc, s0, v4
	v_addc_co_u32_e32 v3, vcc, 0, v7, vcc
	global_load_ushort v4, v[2:3], off
	v_add_co_u32_e32 v2, vcc, s0, v8
	v_addc_co_u32_e32 v3, vcc, 0, v9, vcc
	global_load_ushort v2, v[2:3], off
	v_sub_f32_e32 v1, v5, v1
	v_mul_f32_e32 v0, v1, v0
	s_mov_b32 s0, 0x7f800000
	s_waitcnt vmcnt(1)
	v_lshlrev_b32_e32 v3, 16, v4
	s_waitcnt vmcnt(0)
	v_lshlrev_b32_e32 v1, 16, v2
	v_fmac_f32_e32 v1, v0, v3
	v_and_b32_e32 v0, 0x7f800000, v1
	v_cmp_ne_u32_e32 vcc, s0, v0
                                        ; implicit-def: $vgpr0
	s_and_saveexec_b64 s[0:1], vcc
	s_xor_b64 s[0:1], exec, s[0:1]
; %bb.41:
	v_bfe_u32 v0, v1, 16, 1
	s_movk_i32 s2, 0x7fff
	v_add3_u32 v0, v1, v0, s2
                                        ; implicit-def: $vgpr1
; %bb.42:
	s_andn2_saveexec_b64 s[0:1], s[0:1]
; %bb.43:
	v_mov_b32_e32 v0, 0
	v_or_b32_e32 v2, 0x10000, v1
	v_cmp_eq_u32_sdwa vcc, v1, v0 src0_sel:WORD_0 src1_sel:DWORD
	v_cndmask_b32_e32 v0, v2, v1, vcc
; %bb.44:
	s_or_b64 exec, exec, s[0:1]
	v_add_u32_e32 v2, s20, v6
	v_mov_b32_e32 v3, 0
	v_lshlrev_b64 v[2:3], 1, v[2:3]
	v_mov_b32_e32 v1, s17
	v_add_co_u32_e32 v2, vcc, s16, v2
	v_addc_co_u32_e32 v3, vcc, v1, v3, vcc
	global_store_short_d16_hi v[2:3], v0, off
.LBB19_45:
	s_endpgm
	.section	.rodata,"a",@progbits
	.p2align	6, 0x0
	.amdhsa_kernel _Z28addBiasResidualPostLayerNormI14__hip_bfloat16Li2ELi64EEvPT_PKS1_S4_S4_S4_fi
		.amdhsa_group_segment_fixed_size 72
		.amdhsa_private_segment_fixed_size 0
		.amdhsa_kernarg_size 304
		.amdhsa_user_sgpr_count 6
		.amdhsa_user_sgpr_private_segment_buffer 1
		.amdhsa_user_sgpr_dispatch_ptr 0
		.amdhsa_user_sgpr_queue_ptr 0
		.amdhsa_user_sgpr_kernarg_segment_ptr 1
		.amdhsa_user_sgpr_dispatch_id 0
		.amdhsa_user_sgpr_flat_scratch_init 0
		.amdhsa_user_sgpr_kernarg_preload_length 0
		.amdhsa_user_sgpr_kernarg_preload_offset 0
		.amdhsa_user_sgpr_private_segment_size 0
		.amdhsa_uses_dynamic_stack 0
		.amdhsa_system_sgpr_private_segment_wavefront_offset 0
		.amdhsa_system_sgpr_workgroup_id_x 1
		.amdhsa_system_sgpr_workgroup_id_y 0
		.amdhsa_system_sgpr_workgroup_id_z 0
		.amdhsa_system_sgpr_workgroup_info 0
		.amdhsa_system_vgpr_workitem_id 0
		.amdhsa_next_free_vgpr 20
		.amdhsa_next_free_sgpr 24
		.amdhsa_accum_offset 20
		.amdhsa_reserve_vcc 1
		.amdhsa_reserve_flat_scratch 0
		.amdhsa_float_round_mode_32 0
		.amdhsa_float_round_mode_16_64 0
		.amdhsa_float_denorm_mode_32 3
		.amdhsa_float_denorm_mode_16_64 3
		.amdhsa_dx10_clamp 1
		.amdhsa_ieee_mode 1
		.amdhsa_fp16_overflow 0
		.amdhsa_tg_split 0
		.amdhsa_exception_fp_ieee_invalid_op 0
		.amdhsa_exception_fp_denorm_src 0
		.amdhsa_exception_fp_ieee_div_zero 0
		.amdhsa_exception_fp_ieee_overflow 0
		.amdhsa_exception_fp_ieee_underflow 0
		.amdhsa_exception_fp_ieee_inexact 0
		.amdhsa_exception_int_div_zero 0
	.end_amdhsa_kernel
	.section	.text._Z28addBiasResidualPostLayerNormI14__hip_bfloat16Li2ELi64EEvPT_PKS1_S4_S4_S4_fi,"axG",@progbits,_Z28addBiasResidualPostLayerNormI14__hip_bfloat16Li2ELi64EEvPT_PKS1_S4_S4_S4_fi,comdat
.Lfunc_end19:
	.size	_Z28addBiasResidualPostLayerNormI14__hip_bfloat16Li2ELi64EEvPT_PKS1_S4_S4_S4_fi, .Lfunc_end19-_Z28addBiasResidualPostLayerNormI14__hip_bfloat16Li2ELi64EEvPT_PKS1_S4_S4_S4_fi
                                        ; -- End function
	.section	.AMDGPU.csdata,"",@progbits
; Kernel info:
; codeLenInByte = 2100
; NumSgprs: 28
; NumVgprs: 20
; NumAgprs: 0
; TotalNumVgprs: 20
; ScratchSize: 0
; MemoryBound: 0
; FloatMode: 240
; IeeeMode: 1
; LDSByteSize: 72 bytes/workgroup (compile time only)
; SGPRBlocks: 3
; VGPRBlocks: 2
; NumSGPRsForWavesPerEU: 28
; NumVGPRsForWavesPerEU: 20
; AccumOffset: 20
; Occupancy: 8
; WaveLimiterHint : 0
; COMPUTE_PGM_RSRC2:SCRATCH_EN: 0
; COMPUTE_PGM_RSRC2:USER_SGPR: 6
; COMPUTE_PGM_RSRC2:TRAP_HANDLER: 0
; COMPUTE_PGM_RSRC2:TGID_X_EN: 1
; COMPUTE_PGM_RSRC2:TGID_Y_EN: 0
; COMPUTE_PGM_RSRC2:TGID_Z_EN: 0
; COMPUTE_PGM_RSRC2:TIDIG_COMP_CNT: 0
; COMPUTE_PGM_RSRC3_GFX90A:ACCUM_OFFSET: 4
; COMPUTE_PGM_RSRC3_GFX90A:TG_SPLIT: 0
	.section	.text._Z35generalAddBiasResidualPostLayerNormI14__hip_bfloat16Li64EEvPT_PKS1_S4_S4_S4_fi,"axG",@progbits,_Z35generalAddBiasResidualPostLayerNormI14__hip_bfloat16Li64EEvPT_PKS1_S4_S4_S4_fi,comdat
	.protected	_Z35generalAddBiasResidualPostLayerNormI14__hip_bfloat16Li64EEvPT_PKS1_S4_S4_S4_fi ; -- Begin function _Z35generalAddBiasResidualPostLayerNormI14__hip_bfloat16Li64EEvPT_PKS1_S4_S4_S4_fi
	.globl	_Z35generalAddBiasResidualPostLayerNormI14__hip_bfloat16Li64EEvPT_PKS1_S4_S4_S4_fi
	.p2align	8
	.type	_Z35generalAddBiasResidualPostLayerNormI14__hip_bfloat16Li64EEvPT_PKS1_S4_S4_S4_fi,@function
_Z35generalAddBiasResidualPostLayerNormI14__hip_bfloat16Li64EEvPT_PKS1_S4_S4_S4_fi: ; @_Z35generalAddBiasResidualPostLayerNormI14__hip_bfloat16Li64EEvPT_PKS1_S4_S4_S4_fi
; %bb.0:
	s_load_dwordx2 s[12:13], s[4:5], 0x28
	s_load_dwordx2 s[20:21], s[4:5], 0x0
	s_load_dwordx4 s[16:19], s[4:5], 0x18
	v_mov_b32_e32 v1, 0
	s_waitcnt lgkmcnt(0)
	s_lshr_b32 s0, s13, 31
	s_add_i32 s0, s13, s0
	s_ashr_i32 s28, s0, 1
	v_cmp_gt_i32_e64 s[0:1], s28, v0
	s_mul_i32 s14, s6, s13
	s_and_saveexec_b64 s[2:3], s[0:1]
	s_cbranch_execz .LBB20_20
; %bb.1:
	s_load_dword s6, s[4:5], 0x3c
	s_load_dwordx4 s[8:11], s[4:5], 0x8
	v_lshlrev_b32_e32 v1, 2, v0
	s_mov_b32 s26, 0
	s_lshr_b32 s15, s14, 1
	s_waitcnt lgkmcnt(0)
	s_and_b32 s22, s6, 0xffff
	v_mov_b32_e32 v2, s11
	v_add_co_u32_e32 v1, vcc, s10, v1
	v_addc_co_u32_e32 v3, vcc, 0, v2, vcc
	v_add_co_u32_e32 v2, vcc, 2, v1
	v_addc_co_u32_e32 v3, vcc, 0, v3, vcc
	s_lshl_b32 s23, s22, 2
	s_mov_b64 s[6:7], 0
	v_mov_b32_e32 v8, 0
	v_mov_b32_e32 v9, s21
	;; [unrolled: 1-line block ×3, first 2 shown]
	s_mov_b32 s9, 0x7f800000
	s_movk_i32 s24, 0x7fff
	s_mov_b32 s25, 0x7060302
	v_mov_b32_e32 v11, s26
	v_mov_b32_e32 v1, 0
	;; [unrolled: 1-line block ×3, first 2 shown]
	s_branch .LBB20_3
.LBB20_2:                               ;   in Loop: Header=BB20_3 Depth=1
	s_or_b64 exec, exec, s[10:11]
	v_add_u32_e32 v12, s22, v12
	v_and_b32_e32 v13, 0xffff0000, v6
	v_cmp_le_i32_e32 vcc, s28, v12
	v_and_b32_e32 v14, 0xffff0000, v7
	v_add_f32_e32 v1, v1, v13
	s_or_b64 s[6:7], vcc, s[6:7]
	v_add_co_u32_e32 v2, vcc, s23, v2
	v_add_f32_e32 v1, v1, v14
	v_perm_b32 v6, v7, v6, s25
	v_addc_co_u32_e32 v3, vcc, v3, v11, vcc
	global_store_dword v[4:5], v6, off
	s_andn2_b64 exec, exec, s[6:7]
	s_cbranch_execz .LBB20_19
.LBB20_3:                               ; =>This Inner Loop Header: Depth=1
	v_add_u32_e32 v4, s15, v12
	v_ashrrev_i32_e32 v5, 31, v4
	v_lshlrev_b64 v[6:7], 2, v[4:5]
	v_add_co_u32_e32 v4, vcc, s20, v6
	v_addc_co_u32_e32 v5, vcc, v9, v7, vcc
	v_add_co_u32_e32 v6, vcc, s8, v6
	v_addc_co_u32_e32 v7, vcc, v10, v7, vcc
	global_load_dword v15, v[6:7], off
	global_load_dword v14, v[4:5], off
                                        ; implicit-def: $vgpr13
	s_waitcnt vmcnt(1)
	v_lshlrev_b32_e32 v6, 16, v15
	s_waitcnt vmcnt(0)
	v_lshlrev_b32_e32 v16, 16, v14
	v_pk_add_f32 v[6:7], v[6:7], v[16:17] op_sel_hi:[0,1]
	v_and_b32_e32 v7, 0x7f800000, v6
	v_cmp_ne_u32_e32 vcc, s9, v7
	s_and_saveexec_b64 s[10:11], vcc
	s_xor_b64 s[10:11], exec, s[10:11]
; %bb.4:                                ;   in Loop: Header=BB20_3 Depth=1
	v_bfe_u32 v7, v6, 16, 1
	v_add3_u32 v13, v6, v7, s24
                                        ; implicit-def: $vgpr6_vgpr7
; %bb.5:                                ;   in Loop: Header=BB20_3 Depth=1
	s_andn2_saveexec_b64 s[10:11], s[10:11]
; %bb.6:                                ;   in Loop: Header=BB20_3 Depth=1
	v_or_b32_e32 v7, 0x10000, v6
	v_cmp_eq_u32_sdwa vcc, v6, v8 src0_sel:WORD_0 src1_sel:DWORD
	v_cndmask_b32_e32 v13, v7, v6, vcc
; %bb.7:                                ;   in Loop: Header=BB20_3 Depth=1
	s_or_b64 exec, exec, s[10:11]
	v_and_b32_e32 v6, 0xffff0000, v15
	v_and_b32_e32 v14, 0xffff0000, v14
	v_pk_add_f32 v[6:7], v[6:7], v[14:15] op_sel_hi:[0,1]
	v_and_b32_e32 v7, 0x7f800000, v6
	v_cmp_ne_u32_e32 vcc, s9, v7
                                        ; implicit-def: $vgpr14
	s_and_saveexec_b64 s[10:11], vcc
	s_xor_b64 s[10:11], exec, s[10:11]
; %bb.8:                                ;   in Loop: Header=BB20_3 Depth=1
	v_bfe_u32 v7, v6, 16, 1
	v_add3_u32 v14, v6, v7, s24
                                        ; implicit-def: $vgpr6_vgpr7
; %bb.9:                                ;   in Loop: Header=BB20_3 Depth=1
	s_andn2_saveexec_b64 s[10:11], s[10:11]
; %bb.10:                               ;   in Loop: Header=BB20_3 Depth=1
	v_or_b32_e32 v7, 0x10000, v6
	v_cmp_eq_u32_sdwa vcc, v6, v8 src0_sel:WORD_0 src1_sel:DWORD
	v_cndmask_b32_e32 v14, v7, v6, vcc
; %bb.11:                               ;   in Loop: Header=BB20_3 Depth=1
	s_or_b64 exec, exec, s[10:11]
	global_load_dword v7, v[2:3], off offset:-2
	v_and_b32_e32 v6, 0xffff0000, v13
	s_waitcnt vmcnt(0)
	v_lshlrev_b32_e32 v13, 16, v7
	v_add_f32_e32 v13, v6, v13
	v_and_b32_e32 v6, 0x7f800000, v13
	v_cmp_ne_u32_e32 vcc, s9, v6
                                        ; implicit-def: $vgpr6
	s_and_saveexec_b64 s[10:11], vcc
	s_xor_b64 s[10:11], exec, s[10:11]
; %bb.12:                               ;   in Loop: Header=BB20_3 Depth=1
	v_bfe_u32 v6, v13, 16, 1
	v_add3_u32 v6, v13, v6, s24
                                        ; implicit-def: $vgpr13
; %bb.13:                               ;   in Loop: Header=BB20_3 Depth=1
	s_andn2_saveexec_b64 s[10:11], s[10:11]
; %bb.14:                               ;   in Loop: Header=BB20_3 Depth=1
	v_or_b32_e32 v6, 0x10000, v13
	v_cmp_eq_u32_sdwa vcc, v13, v8 src0_sel:WORD_0 src1_sel:DWORD
	v_cndmask_b32_e32 v6, v6, v13, vcc
; %bb.15:                               ;   in Loop: Header=BB20_3 Depth=1
	s_or_b64 exec, exec, s[10:11]
	v_and_b32_e32 v13, 0xffff0000, v14
	v_and_b32_e32 v7, 0xffff0000, v7
	v_add_f32_e32 v13, v13, v7
	v_and_b32_e32 v7, 0x7f800000, v13
	v_cmp_ne_u32_e32 vcc, s9, v7
                                        ; implicit-def: $vgpr7
	s_and_saveexec_b64 s[10:11], vcc
	s_xor_b64 s[10:11], exec, s[10:11]
; %bb.16:                               ;   in Loop: Header=BB20_3 Depth=1
	v_bfe_u32 v7, v13, 16, 1
	v_add3_u32 v7, v13, v7, s24
                                        ; implicit-def: $vgpr13
; %bb.17:                               ;   in Loop: Header=BB20_3 Depth=1
	s_andn2_saveexec_b64 s[10:11], s[10:11]
	s_cbranch_execz .LBB20_2
; %bb.18:                               ;   in Loop: Header=BB20_3 Depth=1
	v_or_b32_e32 v7, 0x10000, v13
	v_cmp_eq_u32_sdwa vcc, v13, v8 src0_sel:WORD_0 src1_sel:DWORD
	v_cndmask_b32_e32 v7, v7, v13, vcc
	s_branch .LBB20_2
.LBB20_19:
	s_or_b64 exec, exec, s[6:7]
.LBB20_20:
	s_or_b64 exec, exec, s[2:3]
	v_mbcnt_lo_u32_b32 v2, -1, 0
	v_mbcnt_hi_u32_b32 v2, -1, v2
	v_and_b32_e32 v3, 64, v2
	v_add_u32_e32 v8, 64, v3
	v_xor_b32_e32 v3, 32, v2
	v_cmp_lt_i32_e32 vcc, v3, v8
	v_cndmask_b32_e32 v3, v2, v3, vcc
	v_lshlrev_b32_e32 v4, 2, v3
	ds_bpermute_b32 v3, v4, v1
	v_xor_b32_e32 v5, 16, v2
	v_cmp_lt_i32_e32 vcc, v5, v8
	v_xor_b32_e32 v6, 8, v2
	v_xor_b32_e32 v7, 4, v2
	s_waitcnt lgkmcnt(0)
	v_add_f32_e32 v3, v1, v3
	v_cndmask_b32_e32 v1, v2, v5, vcc
	v_lshlrev_b32_e32 v1, 2, v1
	ds_bpermute_b32 v5, v1, v3
	v_cmp_lt_i32_e32 vcc, v6, v8
	v_xor_b32_e32 v9, 2, v2
	v_xor_b32_e32 v10, 1, v2
	s_waitcnt lgkmcnt(0)
	v_add_f32_e32 v3, v3, v5
	v_cndmask_b32_e32 v5, v2, v6, vcc
	v_lshlrev_b32_e32 v5, 2, v5
	ds_bpermute_b32 v6, v5, v3
	v_cmp_lt_i32_e32 vcc, v7, v8
	s_waitcnt lgkmcnt(0)
	v_add_f32_e32 v3, v3, v6
	v_cndmask_b32_e32 v6, v2, v7, vcc
	v_lshlrev_b32_e32 v6, 2, v6
	ds_bpermute_b32 v7, v6, v3
	v_cmp_lt_i32_e32 vcc, v9, v8
	s_waitcnt lgkmcnt(0)
	v_add_f32_e32 v3, v3, v7
	v_cndmask_b32_e32 v7, v2, v9, vcc
	v_lshlrev_b32_e32 v7, 2, v7
	ds_bpermute_b32 v9, v7, v3
	v_cmp_lt_i32_e32 vcc, v10, v8
	v_cndmask_b32_e32 v2, v2, v10, vcc
	v_lshlrev_b32_e32 v8, 2, v2
	v_and_b32_e32 v2, 63, v0
	s_waitcnt lgkmcnt(0)
	v_add_f32_e32 v3, v3, v9
	ds_bpermute_b32 v9, v8, v3
	v_cmp_eq_u32_e64 s[2:3], 0, v2
	v_lshrrev_b32_e32 v10, 4, v0
	s_and_saveexec_b64 s[6:7], s[2:3]
	s_cbranch_execz .LBB20_22
; %bb.21:
	s_waitcnt lgkmcnt(0)
	v_add_f32_e32 v3, v3, v9
	ds_write_b32 v10, v3
.LBB20_22:
	s_or_b64 exec, exec, s[6:7]
	s_waitcnt lgkmcnt(0)
	s_barrier
	s_load_dword s10, s[4:5], 0x3c
	v_mov_b32_e32 v3, 0
	v_lshlrev_b32_e32 v11, 2, v2
	s_waitcnt lgkmcnt(0)
	s_bfe_u32 s4, s10, 0xa0006
	v_cmp_gt_u32_e64 s[4:5], s4, v0
	s_and_saveexec_b64 s[6:7], s[4:5]
	s_cbranch_execz .LBB20_24
; %bb.23:
	ds_read_b32 v3, v11
.LBB20_24:
	s_or_b64 exec, exec, s[6:7]
	s_waitcnt lgkmcnt(0)
	ds_bpermute_b32 v2, v4, v3
	v_cvt_f32_i32_e32 v9, s13
	v_cmp_eq_u32_e64 s[6:7], 0, v0
	s_waitcnt lgkmcnt(0)
	v_add_f32_e32 v2, v3, v2
	ds_bpermute_b32 v3, v1, v2
	s_waitcnt lgkmcnt(0)
	v_add_f32_e32 v2, v2, v3
	ds_bpermute_b32 v3, v5, v2
	;; [unrolled: 3-line block ×5, first 2 shown]
	s_and_saveexec_b64 s[8:9], s[6:7]
	s_cbranch_execz .LBB20_26
; %bb.25:
	s_waitcnt lgkmcnt(0)
	v_add_f32_e32 v2, v2, v3
	v_div_scale_f32 v3, s[22:23], v9, v9, v2
	v_rcp_f32_e32 v12, v3
	v_div_scale_f32 v13, vcc, v2, v9, v2
	v_fma_f32 v14, -v3, v12, 1.0
	v_fmac_f32_e32 v12, v14, v12
	v_mul_f32_e32 v14, v13, v12
	v_fma_f32 v15, -v3, v14, v13
	v_fmac_f32_e32 v14, v15, v12
	v_fma_f32 v3, -v3, v14, v13
	v_div_fmas_f32 v3, v3, v12, v14
	v_div_fixup_f32 v2, v3, v9, v2
	v_mov_b32_e32 v3, 0
	ds_write_b32 v3, v2 offset:68
.LBB20_26:
	s_or_b64 exec, exec, s[8:9]
	s_and_b32 s29, s10, 0xffff
	v_mov_b32_e32 v12, 0
	s_waitcnt lgkmcnt(0)
	s_barrier
	s_and_saveexec_b64 s[8:9], s[0:1]
	s_cbranch_execz .LBB20_30
; %bb.27:
	v_mov_b32_e32 v12, 0
	ds_read_b32 v2, v12 offset:68
	s_lshr_b32 s13, s14, 1
	s_mov_b64 s[10:11], 0
	v_mov_b32_e32 v13, s21
	v_mov_b32_e32 v14, v0
	s_waitcnt lgkmcnt(0)
	v_mov_b32_e32 v3, v2
.LBB20_28:                              ; =>This Inner Loop Header: Depth=1
	v_add_u32_e32 v16, s13, v14
	v_ashrrev_i32_e32 v17, 31, v16
	v_lshlrev_b64 v[16:17], 2, v[16:17]
	v_add_co_u32_e32 v16, vcc, s20, v16
	v_addc_co_u32_e32 v17, vcc, v13, v17, vcc
	global_load_dword v15, v[16:17], off
	v_add_u32_e32 v14, s29, v14
	v_cmp_le_i32_e32 vcc, s28, v14
	s_or_b64 s[10:11], vcc, s[10:11]
	s_waitcnt vmcnt(0)
	v_and_b32_e32 v17, 0xffff0000, v15
	v_lshlrev_b32_e32 v16, 16, v15
	v_pk_add_f32 v[16:17], v[16:17], v[2:3] neg_lo:[0,1] neg_hi:[0,1]
	v_pk_mul_f32 v[16:17], v[16:17], v[16:17]
	v_add_f32_e32 v12, v12, v16
	v_add_f32_e32 v12, v12, v17
	s_andn2_b64 exec, exec, s[10:11]
	s_cbranch_execnz .LBB20_28
; %bb.29:
	s_or_b64 exec, exec, s[10:11]
.LBB20_30:
	s_or_b64 exec, exec, s[8:9]
	ds_bpermute_b32 v2, v4, v12
	s_waitcnt lgkmcnt(0)
	v_add_f32_e32 v2, v12, v2
	ds_bpermute_b32 v3, v1, v2
	s_waitcnt lgkmcnt(0)
	v_add_f32_e32 v2, v2, v3
	;; [unrolled: 3-line block ×5, first 2 shown]
	ds_bpermute_b32 v3, v8, v2
	s_and_saveexec_b64 s[8:9], s[2:3]
	s_cbranch_execz .LBB20_32
; %bb.31:
	s_waitcnt lgkmcnt(0)
	v_add_f32_e32 v2, v2, v3
	ds_write_b32 v10, v2
.LBB20_32:
	s_or_b64 exec, exec, s[8:9]
	v_mov_b32_e32 v2, 0
	s_waitcnt lgkmcnt(0)
	s_barrier
	s_and_saveexec_b64 s[2:3], s[4:5]
	s_cbranch_execz .LBB20_34
; %bb.33:
	ds_read_b32 v2, v11
.LBB20_34:
	s_or_b64 exec, exec, s[2:3]
	s_waitcnt lgkmcnt(0)
	ds_bpermute_b32 v3, v4, v2
	s_waitcnt lgkmcnt(0)
	v_add_f32_e32 v2, v2, v3
	ds_bpermute_b32 v1, v1, v2
	s_waitcnt lgkmcnt(0)
	v_add_f32_e32 v1, v2, v1
	;; [unrolled: 3-line block ×5, first 2 shown]
	ds_bpermute_b32 v2, v8, v1
	s_and_saveexec_b64 s[2:3], s[6:7]
	s_cbranch_execz .LBB20_36
; %bb.35:
	s_waitcnt lgkmcnt(0)
	v_add_f32_e32 v1, v1, v2
	v_div_scale_f32 v2, s[4:5], v9, v9, v1
	v_rcp_f32_e32 v3, v2
	v_div_scale_f32 v4, vcc, v1, v9, v1
	s_mov_b32 s4, 0x800000
	v_fma_f32 v5, -v2, v3, 1.0
	v_fmac_f32_e32 v3, v5, v3
	v_mul_f32_e32 v5, v4, v3
	v_fma_f32 v6, -v2, v5, v4
	v_fmac_f32_e32 v5, v6, v3
	v_fma_f32 v2, -v2, v5, v4
	v_div_fmas_f32 v2, v2, v3, v5
	v_div_fixup_f32 v1, v2, v9, v1
	v_add_f32_e32 v1, s12, v1
	v_mul_f32_e32 v2, 0x4b800000, v1
	v_cmp_gt_f32_e32 vcc, s4, v1
	v_cndmask_b32_e32 v1, v1, v2, vcc
	v_rsq_f32_e32 v1, v1
	v_mul_f32_e32 v2, 0x45800000, v1
	v_cndmask_b32_e32 v1, v1, v2, vcc
	v_mov_b32_e32 v2, 0
	ds_write_b32 v2, v1 offset:64
.LBB20_36:
	s_or_b64 exec, exec, s[2:3]
	s_waitcnt lgkmcnt(0)
	s_barrier
	s_and_saveexec_b64 s[2:3], s[0:1]
	s_cbranch_execz .LBB20_54
; %bb.37:
	v_cvt_f32_u32_e32 v1, s29
	v_add_u32_e32 v2, s29, v0
	v_mov_b32_e32 v4, s29
	v_cmp_gt_i32_e64 s[0:1], s28, v2
	v_rcp_iflag_f32_e32 v1, v1
	s_sub_i32 s2, 0, s29
	v_max_i32_e32 v5, s28, v2
	v_addc_co_u32_e64 v2, vcc, v0, v4, s[0:1]
	v_mul_f32_e32 v1, 0x4f7ffffe, v1
	v_cvt_u32_f32_e32 v1, v1
	v_sub_u32_e32 v2, v5, v2
	v_mov_b32_e32 v3, 0
	ds_read_b64 v[6:7], v3 offset:64
	v_mul_lo_u32 v4, s2, v1
	v_mul_hi_u32 v4, v1, v4
	v_add_u32_e32 v1, v1, v4
	v_mul_hi_u32 v1, v2, v1
	v_mul_lo_u32 v4, v1, s29
	v_sub_u32_e32 v2, v2, v4
	v_add_u32_e32 v4, 1, v1
	v_cmp_le_u32_e32 vcc, s29, v2
	v_cndmask_b32_e32 v1, v1, v4, vcc
	v_subrev_u32_e32 v4, s29, v2
	v_cndmask_b32_e32 v2, v2, v4, vcc
	v_add_u32_e32 v4, 1, v1
	v_cmp_le_u32_e32 vcc, s29, v2
	v_cndmask_b32_e32 v1, v1, v4, vcc
	v_addc_co_u32_e64 v22, vcc, 1, v1, s[0:1]
	s_lshr_b32 s30, s14, 1
	v_cmp_gt_u32_e32 vcc, 16, v22
	v_cmp_lt_u32_e64 s[2:3], 15, v22
	s_and_saveexec_b64 s[22:23], s[2:3]
	s_cbranch_execz .LBB20_43
; %bb.38:
	v_addc_co_u32_e64 v2, s[0:1], 0, v1, s[0:1]
	v_add_u32_e32 v4, s30, v0
	v_add_u32_e32 v1, v4, v2
	v_ashrrev_i32_e32 v5, 31, v4
	v_cmp_ge_i32_e64 s[0:1], v1, v4
	v_lshlrev_b64 v[4:5], 2, v[4:5]
	v_mov_b32_e32 v1, s21
	v_add_co_u32_e64 v4, s[2:3], s20, v4
	v_addc_co_u32_e64 v5, s[2:3], v1, v5, s[2:3]
	v_add_co_u32_e64 v8, s[2:3], 2, v4
	v_addc_co_u32_e64 v9, s[2:3], 0, v5, s[2:3]
	v_lshlrev_b64 v[2:3], 2, v[2:3]
	v_add_co_u32_e64 v2, s[2:3], v4, v2
	v_addc_co_u32_e64 v3, s[2:3], v5, v3, s[2:3]
	s_cmp_eq_u32 s29, 1
	v_add_co_u32_e64 v10, s[2:3], 2, v2
	s_cselect_b64 s[6:7], -1, 0
	v_addc_co_u32_e64 v11, s[2:3], 0, v3, s[2:3]
	v_cmp_ge_u64_e64 s[2:3], v[10:11], v[8:9]
	s_and_b64 s[0:1], s[6:7], s[0:1]
	v_cmp_ge_u64_e64 s[4:5], v[2:3], v[4:5]
	s_and_b64 s[0:1], s[0:1], s[2:3]
	s_and_b64 s[2:3], s[0:1], s[4:5]
	s_mov_b64 s[0:1], -1
	s_and_saveexec_b64 s[24:25], s[2:3]
	s_cbranch_execz .LBB20_42
; %bb.39:
	v_add_u32_e32 v3, 3, v0
	v_add_u32_e32 v2, 2, v0
	v_and_b32_e32 v23, -4, v22
	v_add_u32_e32 v1, 1, v0
	v_pk_mov_b32 v[4:5], v[2:3], v[2:3] op_sel:[0,1]
	s_mov_b32 s31, s30
	s_mov_b32 s33, s30
	;; [unrolled: 1-line block ×3, first 2 shown]
	s_waitcnt lgkmcnt(0)
	v_mov_b32_e32 v8, v6
	v_mov_b32_e32 v9, v6
	s_mov_b64 s[26:27], 0
	v_mov_b32_e32 v24, s21
	v_mov_b32_e32 v25, s17
	;; [unrolled: 1-line block ×5, first 2 shown]
	s_mov_b32 s35, 0x7f800000
	s_movk_i32 s36, 0x7fff
	s_mov_b32 s37, 0x7060302
	v_mov_b32_e32 v13, 0
	v_mov_b32_e32 v27, v23
	v_pk_mov_b32 v[2:3], v[0:1], v[0:1] op_sel:[0,1]
.LBB20_40:                              ; =>This Inner Loop Header: Depth=1
	v_add_u32_e32 v14, s30, v2
	v_add_u32_e32 v27, -4, v27
	v_ashrrev_i32_e32 v15, 31, v14
	v_add_u32_e32 v16, s31, v3
	v_cmp_eq_u32_e64 s[0:1], 0, v27
	v_lshlrev_b64 v[14:15], 2, v[14:15]
	v_ashrrev_i32_e32 v17, 31, v16
	s_or_b64 s[26:27], s[0:1], s[26:27]
	v_add_co_u32_e64 v14, s[0:1], s20, v14
	v_add_u32_e32 v18, s33, v4
	v_lshlrev_b64 v[16:17], 2, v[16:17]
	v_addc_co_u32_e64 v15, s[0:1], v24, v15, s[0:1]
	v_ashrrev_i32_e32 v19, 31, v18
	v_add_co_u32_e64 v16, s[0:1], s20, v16
	v_add_u32_e32 v20, s34, v5
	v_lshlrev_b64 v[18:19], 2, v[18:19]
	v_addc_co_u32_e64 v17, s[0:1], v24, v17, s[0:1]
	v_ashrrev_i32_e32 v21, 31, v20
	v_add_co_u32_e64 v18, s[0:1], s20, v18
	v_mov_b32_e32 v12, v2
	v_lshlrev_b64 v[20:21], 2, v[20:21]
	v_addc_co_u32_e64 v19, s[0:1], v24, v19, s[0:1]
	v_lshlrev_b64 v[28:29], 2, v[12:13]
	v_mov_b32_e32 v12, v3
	v_add_co_u32_e64 v20, s[0:1], s20, v20
	v_lshlrev_b64 v[32:33], 2, v[12:13]
	v_addc_co_u32_e64 v21, s[0:1], v24, v21, s[0:1]
	v_add_co_u32_e64 v30, s[2:3], s16, v28
	v_add_co_u32_e64 v34, s[0:1], s16, v32
	v_addc_co_u32_e64 v31, s[2:3], v25, v29, s[2:3]
	v_addc_co_u32_e64 v35, s[0:1], v25, v33, s[0:1]
	v_mov_b32_e32 v12, v4
	v_add_co_u32_e64 v28, s[2:3], s18, v28
	global_load_dword v1, v[30:31], off
	v_add_co_u32_e64 v30, s[0:1], s18, v32
	v_addc_co_u32_e64 v29, s[2:3], v26, v29, s[2:3]
	v_lshlrev_b64 v[36:37], 2, v[12:13]
	v_addc_co_u32_e64 v31, s[0:1], v26, v33, s[0:1]
	global_load_dword v38, v[28:29], off
	v_add_co_u32_e64 v28, s[0:1], s16, v36
	v_mov_b32_e32 v12, v5
	v_addc_co_u32_e64 v29, s[0:1], v25, v37, s[0:1]
	global_load_dword v39, v[14:15], off
	global_load_dword v40, v[16:17], off
	global_load_dword v41, v[18:19], off
	global_load_dword v42, v[20:21], off
	v_lshlrev_b64 v[32:33], 2, v[12:13]
	global_load_dword v12, v[34:35], off
	global_load_dword v43, v[30:31], off
	v_add_co_u32_e64 v30, s[0:1], s18, v36
	v_addc_co_u32_e64 v31, s[0:1], v26, v37, s[0:1]
	global_load_dword v37, v[28:29], off
	global_load_dword v44, v[30:31], off
	v_add_co_u32_e64 v28, s[0:1], s16, v32
	v_addc_co_u32_e64 v29, s[0:1], v25, v33, s[0:1]
	v_add_co_u32_e64 v30, s[0:1], s18, v32
	v_addc_co_u32_e64 v31, s[0:1], v26, v33, s[0:1]
	global_load_dword v52, v[28:29], off
	global_load_dword v53, v[30:31], off
	v_add_u32_e32 v2, 4, v2
	v_add_u32_e32 v3, 4, v3
	;; [unrolled: 1-line block ×4, first 2 shown]
	s_waitcnt vmcnt(11)
	v_lshlrev_b32_e32 v28, 16, v1
	v_and_b32_e32 v30, 0xffff0000, v1
	s_waitcnt vmcnt(10)
	v_lshlrev_b32_e32 v32, 16, v38
	v_and_b32_e32 v34, 0xffff0000, v38
	s_waitcnt vmcnt(9)
	v_lshlrev_b32_e32 v47, 16, v39
	s_waitcnt vmcnt(8)
	v_lshlrev_b32_e32 v45, 16, v40
	;; [unrolled: 2-line block ×4, first 2 shown]
	v_and_b32_e32 v39, 0xffff0000, v39
	v_and_b32_e32 v48, 0xffff0000, v40
	;; [unrolled: 1-line block ×4, first 2 shown]
	v_sub_f32_e32 v45, v45, v7
	v_sub_f32_e32 v49, v48, v7
	s_waitcnt vmcnt(2)
	v_lshlrev_b32_e32 v40, 16, v44
	v_and_b32_e32 v42, 0xffff0000, v44
	v_sub_f32_e32 v44, v47, v7
	v_sub_f32_e32 v47, v46, v7
	;; [unrolled: 1-line block ×4, first 2 shown]
	v_lshlrev_b32_e32 v29, 16, v12
	v_and_b32_e32 v31, 0xffff0000, v12
	v_lshlrev_b32_e32 v33, 16, v43
	v_and_b32_e32 v35, 0xffff0000, v43
	;; [unrolled: 2-line block ×3, first 2 shown]
	v_sub_f32_e32 v51, v50, v7
	v_sub_f32_e32 v50, v41, v7
	s_waitcnt vmcnt(1)
	v_lshlrev_b32_e32 v37, 16, v52
	s_waitcnt vmcnt(0)
	v_lshlrev_b32_e32 v41, 16, v53
	v_pk_mul_f32 v[46:47], v[46:47], v[10:11]
	v_pk_mul_f32 v[44:45], v[44:45], v[8:9]
	;; [unrolled: 1-line block ×3, first 2 shown]
	v_and_b32_e32 v39, 0xffff0000, v52
	v_and_b32_e32 v43, 0xffff0000, v53
	v_pk_mul_f32 v[50:51], v[50:51], v[10:11]
	v_pk_fma_f32 v[28:29], v[44:45], v[28:29], v[32:33]
	v_pk_fma_f32 v[32:33], v[46:47], v[36:37], v[40:41]
	;; [unrolled: 1-line block ×4, first 2 shown]
	v_and_b32_e32 v12, 0x7f800000, v32
	v_and_b32_e32 v36, 0x7f800000, v29
	;; [unrolled: 1-line block ×3, first 2 shown]
	v_bfe_u32 v38, v33, 16, 1
	v_bfe_u32 v39, v32, 16, 1
	;; [unrolled: 1-line block ×4, first 2 shown]
	v_or_b32_e32 v42, 0x10000, v33
	v_cmp_eq_u32_sdwa s[0:1], v33, v13 src0_sel:WORD_0 src1_sel:DWORD
	v_or_b32_e32 v43, 0x10000, v32
	v_cmp_eq_u32_sdwa s[2:3], v32, v13 src0_sel:WORD_0 src1_sel:DWORD
	;; [unrolled: 2-line block ×3, first 2 shown]
	v_or_b32_e32 v45, 0x10000, v28
	v_and_b32_e32 v49, 0x7f800000, v30
	v_bfe_u32 v53, v30, 16, 1
	v_or_b32_e32 v57, 0x10000, v30
	v_cmp_eq_u32_sdwa s[12:13], v30, v13 src0_sel:WORD_0 src1_sel:DWORD
	v_cmp_eq_u32_sdwa s[14:15], v28, v13 src0_sel:WORD_0 src1_sel:DWORD
	v_and_b32_e32 v1, 0x7f800000, v33
	v_and_b32_e32 v46, 0x7f800000, v35
	;; [unrolled: 1-line block ×4, first 2 shown]
	v_bfe_u32 v50, v35, 16, 1
	v_bfe_u32 v51, v34, 16, 1
	v_bfe_u32 v52, v31, 16, 1
	v_or_b32_e32 v54, 0x10000, v35
	v_cmp_eq_u32_sdwa s[6:7], v35, v13 src0_sel:WORD_0 src1_sel:DWORD
	v_or_b32_e32 v55, 0x10000, v34
	v_cmp_eq_u32_sdwa s[8:9], v34, v13 src0_sel:WORD_0 src1_sel:DWORD
	v_or_b32_e32 v56, 0x10000, v31
	v_cmp_eq_u32_sdwa s[10:11], v31, v13 src0_sel:WORD_0 src1_sel:DWORD
	v_add3_u32 v41, v28, v41, s36
	v_cndmask_b32_e64 v28, v45, v28, s[14:15]
	v_cmp_eq_u32_e64 s[14:15], s35, v37
	v_add3_u32 v37, v29, v40, s36
	v_cndmask_b32_e64 v29, v44, v29, s[4:5]
	v_cmp_eq_u32_e64 s[4:5], s35, v36
	v_add3_u32 v36, v32, v39, s36
	v_cndmask_b32_e64 v32, v43, v32, s[2:3]
	v_cmp_eq_u32_e64 s[2:3], s35, v12
	v_add3_u32 v12, v33, v38, s36
	v_cndmask_b32_e64 v33, v42, v33, s[0:1]
	v_add3_u32 v38, v30, v53, s36
	v_cndmask_b32_e64 v30, v57, v30, s[12:13]
	v_cmp_eq_u32_e64 s[0:1], s35, v49
	v_add3_u32 v39, v31, v52, s36
	v_cndmask_b32_e64 v31, v56, v31, s[10:11]
	v_cmp_eq_u32_e64 s[10:11], s35, v48
	;; [unrolled: 3-line block ×4, first 2 shown]
	v_cmp_eq_u32_e64 s[12:13], s35, v1
	v_cndmask_b32_e64 v28, v41, v28, s[14:15]
	v_cndmask_b32_e64 v30, v38, v30, s[0:1]
	;; [unrolled: 1-line block ×8, first 2 shown]
	v_perm_b32 v28, v30, v28, s37
	v_perm_b32 v29, v31, v29, s37
	;; [unrolled: 1-line block ×4, first 2 shown]
	global_store_dword v[14:15], v28, off
	global_store_dword v[16:17], v29, off
	;; [unrolled: 1-line block ×4, first 2 shown]
	s_andn2_b64 exec, exec, s[26:27]
	s_cbranch_execnz .LBB20_40
; %bb.41:
	s_or_b64 exec, exec, s[26:27]
	v_cmp_ne_u32_e64 s[0:1], v22, v23
	v_add_u32_e32 v0, v0, v23
	s_orn2_b64 s[0:1], s[0:1], exec
.LBB20_42:
	s_or_b64 exec, exec, s[24:25]
	s_andn2_b64 s[2:3], vcc, exec
	s_and_b64 s[0:1], s[0:1], exec
	s_or_b64 vcc, s[2:3], s[0:1]
.LBB20_43:
	s_or_b64 exec, exec, s[22:23]
	s_and_b64 exec, exec, vcc
	s_cbranch_execz .LBB20_54
; %bb.44:
	v_mov_b32_e32 v1, 0
	s_mov_b32 s2, 0
	v_lshlrev_b64 v[2:3], 2, v[0:1]
	v_or_b32_e32 v2, 2, v2
	s_lshl_b32 s4, s29, 2
	s_mov_b64 s[0:1], 0
	v_mov_b32_e32 v8, s21
	v_mov_b32_e32 v9, s17
	;; [unrolled: 1-line block ×3, first 2 shown]
	s_mov_b32 s5, 0x7f800000
	s_movk_i32 s6, 0x7fff
	s_mov_b32 s7, 0x7060302
	v_mov_b32_e32 v11, s2
	s_branch .LBB20_46
.LBB20_45:                              ;   in Loop: Header=BB20_46 Depth=1
	s_or_b64 exec, exec, s[2:3]
	v_add_u32_e32 v0, s29, v0
	v_cmp_le_i32_e32 vcc, s28, v0
	s_or_b64 s[0:1], vcc, s[0:1]
	v_add_co_u32_e32 v2, vcc, s4, v2
	v_perm_b32 v12, v14, v12, s7
	v_addc_co_u32_e32 v3, vcc, v3, v11, vcc
	global_store_dword v[4:5], v12, off
	s_andn2_b64 exec, exec, s[0:1]
	s_cbranch_execz .LBB20_54
.LBB20_46:                              ; =>This Inner Loop Header: Depth=1
	v_add_u32_e32 v4, s30, v0
	v_ashrrev_i32_e32 v5, 31, v4
	v_lshlrev_b64 v[4:5], 2, v[4:5]
	v_add_co_u32_e32 v4, vcc, s20, v4
	v_addc_co_u32_e32 v5, vcc, v8, v5, vcc
	v_add_co_u32_e32 v14, vcc, s16, v2
	v_addc_co_u32_e32 v15, vcc, v9, v3, vcc
	global_load_dword v13, v[4:5], off
	v_add_co_u32_e32 v16, vcc, s18, v2
	v_addc_co_u32_e32 v17, vcc, v10, v3, vcc
	global_load_dword v14, v[14:15], off offset:-2
	s_waitcnt vmcnt(0)
	v_lshlrev_b32_e32 v12, 16, v14
	global_load_dword v15, v[16:17], off offset:-2
	v_lshlrev_b32_e32 v17, 16, v13
	s_waitcnt lgkmcnt(0)
	v_sub_f32_e32 v17, v17, v7
	v_mul_f32_e32 v17, v17, v6
	s_waitcnt vmcnt(0)
	v_lshlrev_b32_e32 v16, 16, v15
	v_fmac_f32_e32 v16, v17, v12
	v_and_b32_e32 v12, 0x7f800000, v16
	v_cmp_ne_u32_e32 vcc, s5, v12
                                        ; implicit-def: $vgpr12
	s_and_saveexec_b64 s[2:3], vcc
	s_xor_b64 s[2:3], exec, s[2:3]
; %bb.47:                               ;   in Loop: Header=BB20_46 Depth=1
	v_bfe_u32 v12, v16, 16, 1
	v_add3_u32 v12, v16, v12, s6
                                        ; implicit-def: $vgpr16
; %bb.48:                               ;   in Loop: Header=BB20_46 Depth=1
	s_andn2_saveexec_b64 s[2:3], s[2:3]
; %bb.49:                               ;   in Loop: Header=BB20_46 Depth=1
	v_or_b32_e32 v12, 0x10000, v16
	v_cmp_eq_u32_sdwa vcc, v16, v1 src0_sel:WORD_0 src1_sel:DWORD
	v_cndmask_b32_e32 v12, v12, v16, vcc
; %bb.50:                               ;   in Loop: Header=BB20_46 Depth=1
	s_or_b64 exec, exec, s[2:3]
	v_and_b32_e32 v16, 0xffff0000, v13
	v_and_b32_e32 v13, 0xffff0000, v15
	v_sub_f32_e32 v15, v16, v7
	v_and_b32_e32 v14, 0xffff0000, v14
	v_mul_f32_e32 v15, v15, v6
	v_fmac_f32_e32 v13, v15, v14
	v_and_b32_e32 v14, 0x7f800000, v13
	v_cmp_ne_u32_e32 vcc, s5, v14
                                        ; implicit-def: $vgpr14
	s_and_saveexec_b64 s[2:3], vcc
	s_xor_b64 s[2:3], exec, s[2:3]
; %bb.51:                               ;   in Loop: Header=BB20_46 Depth=1
	v_bfe_u32 v14, v13, 16, 1
	v_add3_u32 v14, v13, v14, s6
                                        ; implicit-def: $vgpr13
; %bb.52:                               ;   in Loop: Header=BB20_46 Depth=1
	s_andn2_saveexec_b64 s[2:3], s[2:3]
	s_cbranch_execz .LBB20_45
; %bb.53:                               ;   in Loop: Header=BB20_46 Depth=1
	v_or_b32_e32 v14, 0x10000, v13
	v_cmp_eq_u32_sdwa vcc, v13, v1 src0_sel:WORD_0 src1_sel:DWORD
	v_cndmask_b32_e32 v14, v14, v13, vcc
	s_branch .LBB20_45
.LBB20_54:
	s_endpgm
	.section	.rodata,"a",@progbits
	.p2align	6, 0x0
	.amdhsa_kernel _Z35generalAddBiasResidualPostLayerNormI14__hip_bfloat16Li64EEvPT_PKS1_S4_S4_S4_fi
		.amdhsa_group_segment_fixed_size 72
		.amdhsa_private_segment_fixed_size 0
		.amdhsa_kernarg_size 304
		.amdhsa_user_sgpr_count 6
		.amdhsa_user_sgpr_private_segment_buffer 1
		.amdhsa_user_sgpr_dispatch_ptr 0
		.amdhsa_user_sgpr_queue_ptr 0
		.amdhsa_user_sgpr_kernarg_segment_ptr 1
		.amdhsa_user_sgpr_dispatch_id 0
		.amdhsa_user_sgpr_flat_scratch_init 0
		.amdhsa_user_sgpr_kernarg_preload_length 0
		.amdhsa_user_sgpr_kernarg_preload_offset 0
		.amdhsa_user_sgpr_private_segment_size 0
		.amdhsa_uses_dynamic_stack 0
		.amdhsa_system_sgpr_private_segment_wavefront_offset 0
		.amdhsa_system_sgpr_workgroup_id_x 1
		.amdhsa_system_sgpr_workgroup_id_y 0
		.amdhsa_system_sgpr_workgroup_id_z 0
		.amdhsa_system_sgpr_workgroup_info 0
		.amdhsa_system_vgpr_workitem_id 0
		.amdhsa_next_free_vgpr 58
		.amdhsa_next_free_sgpr 38
		.amdhsa_accum_offset 60
		.amdhsa_reserve_vcc 1
		.amdhsa_reserve_flat_scratch 0
		.amdhsa_float_round_mode_32 0
		.amdhsa_float_round_mode_16_64 0
		.amdhsa_float_denorm_mode_32 3
		.amdhsa_float_denorm_mode_16_64 3
		.amdhsa_dx10_clamp 1
		.amdhsa_ieee_mode 1
		.amdhsa_fp16_overflow 0
		.amdhsa_tg_split 0
		.amdhsa_exception_fp_ieee_invalid_op 0
		.amdhsa_exception_fp_denorm_src 0
		.amdhsa_exception_fp_ieee_div_zero 0
		.amdhsa_exception_fp_ieee_overflow 0
		.amdhsa_exception_fp_ieee_underflow 0
		.amdhsa_exception_fp_ieee_inexact 0
		.amdhsa_exception_int_div_zero 0
	.end_amdhsa_kernel
	.section	.text._Z35generalAddBiasResidualPostLayerNormI14__hip_bfloat16Li64EEvPT_PKS1_S4_S4_S4_fi,"axG",@progbits,_Z35generalAddBiasResidualPostLayerNormI14__hip_bfloat16Li64EEvPT_PKS1_S4_S4_S4_fi,comdat
.Lfunc_end20:
	.size	_Z35generalAddBiasResidualPostLayerNormI14__hip_bfloat16Li64EEvPT_PKS1_S4_S4_S4_fi, .Lfunc_end20-_Z35generalAddBiasResidualPostLayerNormI14__hip_bfloat16Li64EEvPT_PKS1_S4_S4_S4_fi
                                        ; -- End function
	.section	.AMDGPU.csdata,"",@progbits
; Kernel info:
; codeLenInByte = 3924
; NumSgprs: 42
; NumVgprs: 58
; NumAgprs: 0
; TotalNumVgprs: 58
; ScratchSize: 0
; MemoryBound: 0
; FloatMode: 240
; IeeeMode: 1
; LDSByteSize: 72 bytes/workgroup (compile time only)
; SGPRBlocks: 5
; VGPRBlocks: 7
; NumSGPRsForWavesPerEU: 42
; NumVGPRsForWavesPerEU: 58
; AccumOffset: 60
; Occupancy: 8
; WaveLimiterHint : 0
; COMPUTE_PGM_RSRC2:SCRATCH_EN: 0
; COMPUTE_PGM_RSRC2:USER_SGPR: 6
; COMPUTE_PGM_RSRC2:TRAP_HANDLER: 0
; COMPUTE_PGM_RSRC2:TGID_X_EN: 1
; COMPUTE_PGM_RSRC2:TGID_Y_EN: 0
; COMPUTE_PGM_RSRC2:TGID_Z_EN: 0
; COMPUTE_PGM_RSRC2:TIDIG_COMP_CNT: 0
; COMPUTE_PGM_RSRC3_GFX90A:ACCUM_OFFSET: 14
; COMPUTE_PGM_RSRC3_GFX90A:TG_SPLIT: 0
	.section	.text._Z28addBiasResidualPostLayerNormI14__hip_bfloat16Li1ELi32EEvPT_PKS1_S4_S4_S4_fi,"axG",@progbits,_Z28addBiasResidualPostLayerNormI14__hip_bfloat16Li1ELi32EEvPT_PKS1_S4_S4_S4_fi,comdat
	.protected	_Z28addBiasResidualPostLayerNormI14__hip_bfloat16Li1ELi32EEvPT_PKS1_S4_S4_S4_fi ; -- Begin function _Z28addBiasResidualPostLayerNormI14__hip_bfloat16Li1ELi32EEvPT_PKS1_S4_S4_S4_fi
	.globl	_Z28addBiasResidualPostLayerNormI14__hip_bfloat16Li1ELi32EEvPT_PKS1_S4_S4_S4_fi
	.p2align	8
	.type	_Z28addBiasResidualPostLayerNormI14__hip_bfloat16Li1ELi32EEvPT_PKS1_S4_S4_S4_fi,@function
_Z28addBiasResidualPostLayerNormI14__hip_bfloat16Li1ELi32EEvPT_PKS1_S4_S4_S4_fi: ; @_Z28addBiasResidualPostLayerNormI14__hip_bfloat16Li1ELi32EEvPT_PKS1_S4_S4_S4_fi
; %bb.0:
	s_load_dwordx2 s[14:15], s[4:5], 0x28
	s_load_dwordx2 s[12:13], s[4:5], 0x0
	s_load_dwordx4 s[8:11], s[4:5], 0x18
	v_mov_b32_e32 v5, 0
	v_lshlrev_b32_e32 v1, 1, v0
	s_waitcnt lgkmcnt(0)
	s_mul_i32 s6, s6, s15
	v_cmp_gt_i32_e64 s[0:1], s15, v0
	v_add_u32_e32 v2, s6, v0
                                        ; implicit-def: $vgpr3
	s_and_saveexec_b64 s[2:3], s[0:1]
	s_cbranch_execz .LBB21_10
; %bb.1:
	s_load_dwordx4 s[16:19], s[4:5], 0x8
	v_mov_b32_e32 v3, 0
	v_lshlrev_b64 v[4:5], 1, v[2:3]
	v_mov_b32_e32 v3, s13
	v_add_co_u32_e32 v6, vcc, s12, v4
	v_addc_co_u32_e32 v7, vcc, v3, v5, vcc
	s_waitcnt lgkmcnt(0)
	v_mov_b32_e32 v3, s17
	v_add_co_u32_e32 v4, vcc, s16, v4
	v_addc_co_u32_e32 v5, vcc, v3, v5, vcc
	global_load_ushort v8, v[6:7], off
	global_load_ushort v9, v[4:5], off
	global_load_ushort v3, v1, s[18:19]
	s_mov_b32 s6, 0x7f800000
	s_waitcnt vmcnt(2)
	v_lshlrev_b32_e32 v4, 16, v8
	s_waitcnt vmcnt(1)
	v_lshlrev_b32_e32 v6, 16, v9
	v_pk_add_f32 v[4:5], v[6:7], v[4:5] op_sel_hi:[0,1]
	v_and_b32_e32 v5, 0x7f800000, v4
	v_cmp_ne_u32_e32 vcc, s6, v5
                                        ; implicit-def: $vgpr6
	s_and_saveexec_b64 s[6:7], vcc
	s_xor_b64 s[6:7], exec, s[6:7]
; %bb.2:
	v_bfe_u32 v5, v4, 16, 1
	s_movk_i32 s16, 0x7fff
	v_add3_u32 v6, v4, v5, s16
                                        ; implicit-def: $vgpr4_vgpr5
; %bb.3:
	s_andn2_saveexec_b64 s[6:7], s[6:7]
; %bb.4:
	v_mov_b32_e32 v5, 0
	v_or_b32_e32 v6, 0x10000, v4
	v_cmp_eq_u32_sdwa vcc, v4, v5 src0_sel:WORD_0 src1_sel:DWORD
	v_cndmask_b32_e32 v6, v6, v4, vcc
; %bb.5:
	s_or_b64 exec, exec, s[6:7]
	v_and_b32_e32 v4, 0xffff0000, v6
	s_waitcnt vmcnt(0)
	v_lshlrev_b32_e32 v3, 16, v3
	v_add_f32_e32 v3, v3, v4
	s_mov_b32 s6, 0x7f800000
	v_and_b32_e32 v4, 0x7f800000, v3
	v_cmp_ne_u32_e32 vcc, s6, v4
                                        ; implicit-def: $vgpr4
	s_and_saveexec_b64 s[6:7], vcc
	s_xor_b64 s[6:7], exec, s[6:7]
; %bb.6:
	v_bfe_u32 v4, v3, 16, 1
	s_movk_i32 s16, 0x7fff
	v_add3_u32 v4, v3, v4, s16
                                        ; implicit-def: $vgpr3
; %bb.7:
	s_andn2_saveexec_b64 s[6:7], s[6:7]
; %bb.8:
	v_mov_b32_e32 v4, 0
	v_or_b32_e32 v5, 0x10000, v3
	v_cmp_eq_u32_sdwa vcc, v3, v4 src0_sel:WORD_0 src1_sel:DWORD
	v_cndmask_b32_e32 v4, v5, v3, vcc
; %bb.9:
	s_or_b64 exec, exec, s[6:7]
	v_and_b32_e32 v3, 0xffff0000, v4
	v_add_f32_e32 v5, 0, v3
.LBB21_10:
	s_or_b64 exec, exec, s[2:3]
	v_mbcnt_lo_u32_b32 v4, -1, 0
	v_mbcnt_hi_u32_b32 v8, -1, v4
	v_and_b32_e32 v4, 0x60, v8
	v_add_u32_e32 v9, 32, v4
	v_xor_b32_e32 v4, 16, v8
	v_cmp_lt_i32_e32 vcc, v4, v9
	v_cndmask_b32_e32 v4, v8, v4, vcc
	v_lshlrev_b32_e32 v4, 2, v4
	ds_bpermute_b32 v6, v4, v5
	v_xor_b32_e32 v7, 8, v8
	v_cmp_lt_i32_e32 vcc, v7, v9
	v_xor_b32_e32 v10, 4, v8
	v_xor_b32_e32 v11, 2, v8
	s_waitcnt lgkmcnt(0)
	v_add_f32_e32 v6, v5, v6
	v_cndmask_b32_e32 v5, v8, v7, vcc
	v_lshlrev_b32_e32 v5, 2, v5
	ds_bpermute_b32 v7, v5, v6
	v_cmp_lt_i32_e32 vcc, v10, v9
	v_xor_b32_e32 v12, 1, v8
	s_waitcnt lgkmcnt(0)
	v_add_f32_e32 v7, v6, v7
	v_cndmask_b32_e32 v6, v8, v10, vcc
	v_lshlrev_b32_e32 v6, 2, v6
	ds_bpermute_b32 v10, v6, v7
	v_cmp_lt_i32_e32 vcc, v11, v9
	s_waitcnt lgkmcnt(0)
	v_add_f32_e32 v10, v7, v10
	v_cndmask_b32_e32 v7, v8, v11, vcc
	v_lshlrev_b32_e32 v7, 2, v7
	ds_bpermute_b32 v11, v7, v10
	v_cmp_lt_i32_e32 vcc, v12, v9
	v_cndmask_b32_e32 v8, v8, v12, vcc
	v_lshlrev_b32_e32 v8, 2, v8
	v_and_b32_e32 v9, 31, v0
	s_waitcnt lgkmcnt(0)
	v_add_f32_e32 v11, v10, v11
	ds_bpermute_b32 v12, v8, v11
	v_cmp_eq_u32_e64 s[2:3], 0, v9
	v_lshrrev_b32_e32 v10, 3, v0
	s_and_saveexec_b64 s[6:7], s[2:3]
	s_cbranch_execz .LBB21_12
; %bb.11:
	s_waitcnt lgkmcnt(0)
	v_add_f32_e32 v11, v11, v12
	ds_write_b32 v10, v11
.LBB21_12:
	s_or_b64 exec, exec, s[6:7]
	s_waitcnt lgkmcnt(0)
	s_barrier
	s_load_dword s4, s[4:5], 0x3c
	v_mov_b32_e32 v12, 0
	v_lshlrev_b32_e32 v11, 2, v9
	s_waitcnt lgkmcnt(0)
	s_bfe_u32 s4, s4, 0xb0005
	v_cmp_gt_u32_e64 s[4:5], s4, v0
	s_and_saveexec_b64 s[6:7], s[4:5]
	s_cbranch_execz .LBB21_14
; %bb.13:
	ds_read_b32 v12, v11
.LBB21_14:
	s_or_b64 exec, exec, s[6:7]
	s_waitcnt lgkmcnt(0)
	ds_bpermute_b32 v9, v4, v12
	v_cmp_eq_u32_e64 s[6:7], 0, v0
	s_waitcnt lgkmcnt(0)
	v_add_f32_e32 v9, v12, v9
	ds_bpermute_b32 v12, v5, v9
	s_waitcnt lgkmcnt(0)
	v_add_f32_e32 v9, v9, v12
	ds_bpermute_b32 v12, v6, v9
	;; [unrolled: 3-line block ×4, first 2 shown]
	v_cvt_f32_i32_e32 v9, s15
	s_and_saveexec_b64 s[16:17], s[6:7]
	s_cbranch_execz .LBB21_16
; %bb.15:
	s_waitcnt lgkmcnt(0)
	v_add_f32_e32 v0, v12, v13
	v_div_scale_f32 v12, s[18:19], v9, v9, v0
	v_rcp_f32_e32 v13, v12
	v_div_scale_f32 v14, vcc, v0, v9, v0
	v_fma_f32 v15, -v12, v13, 1.0
	v_fmac_f32_e32 v13, v15, v13
	v_mul_f32_e32 v15, v14, v13
	v_fma_f32 v16, -v12, v15, v14
	v_fmac_f32_e32 v15, v16, v13
	v_fma_f32 v12, -v12, v15, v14
	v_div_fmas_f32 v12, v12, v13, v15
	v_div_fixup_f32 v0, v12, v9, v0
	v_mov_b32_e32 v12, 0
	ds_write_b32 v12, v0 offset:132
.LBB21_16:
	s_or_b64 exec, exec, s[16:17]
	v_mov_b32_e32 v0, 0
	s_waitcnt lgkmcnt(0)
	s_barrier
	ds_read_b32 v12, v0 offset:132
	s_waitcnt lgkmcnt(0)
	v_sub_f32_e32 v12, v3, v12
	v_mul_f32_e32 v12, v12, v12
	v_cndmask_b32_e64 v12, 0, v12, s[0:1]
	ds_bpermute_b32 v13, v4, v12
	s_waitcnt lgkmcnt(0)
	v_add_f32_e32 v12, v12, v13
	ds_bpermute_b32 v13, v5, v12
	s_waitcnt lgkmcnt(0)
	v_add_f32_e32 v12, v12, v13
	;; [unrolled: 3-line block ×4, first 2 shown]
	ds_bpermute_b32 v13, v8, v12
	s_and_saveexec_b64 s[16:17], s[2:3]
	s_cbranch_execz .LBB21_18
; %bb.17:
	s_waitcnt lgkmcnt(0)
	v_add_f32_e32 v12, v12, v13
	ds_write_b32 v10, v12
.LBB21_18:
	s_or_b64 exec, exec, s[16:17]
	s_waitcnt lgkmcnt(0)
	s_barrier
	s_and_saveexec_b64 s[2:3], s[4:5]
	s_cbranch_execz .LBB21_20
; %bb.19:
	ds_read_b32 v0, v11
.LBB21_20:
	s_or_b64 exec, exec, s[2:3]
	s_waitcnt lgkmcnt(0)
	ds_bpermute_b32 v4, v4, v0
	s_waitcnt lgkmcnt(0)
	v_add_f32_e32 v0, v0, v4
	ds_bpermute_b32 v4, v5, v0
	s_waitcnt lgkmcnt(0)
	v_add_f32_e32 v0, v0, v4
	;; [unrolled: 3-line block ×4, first 2 shown]
	ds_bpermute_b32 v4, v8, v0
	s_and_saveexec_b64 s[2:3], s[6:7]
	s_cbranch_execz .LBB21_22
; %bb.21:
	s_waitcnt lgkmcnt(0)
	v_add_f32_e32 v0, v0, v4
	v_div_scale_f32 v4, s[4:5], v9, v9, v0
	v_rcp_f32_e32 v5, v4
	v_div_scale_f32 v6, vcc, v0, v9, v0
	v_fma_f32 v7, -v4, v5, 1.0
	v_fmac_f32_e32 v5, v7, v5
	v_mul_f32_e32 v7, v6, v5
	v_fma_f32 v8, -v4, v7, v6
	v_fmac_f32_e32 v7, v8, v5
	v_fma_f32 v4, -v4, v7, v6
	v_div_fmas_f32 v4, v4, v5, v7
	v_div_fixup_f32 v0, v4, v9, v0
	v_add_f32_e32 v0, s14, v0
	v_mov_b32_e32 v4, 0
	ds_write_b32 v4, v0 offset:128
.LBB21_22:
	s_or_b64 exec, exec, s[2:3]
	s_waitcnt lgkmcnt(0)
	s_barrier
	s_and_saveexec_b64 s[2:3], s[0:1]
	s_cbranch_execz .LBB21_28
; %bb.23:
	global_load_ushort v4, v1, s[8:9]
	global_load_ushort v5, v1, s[10:11]
	v_mov_b32_e32 v0, 0
	ds_read_b64 v[0:1], v0 offset:128
	s_mov_b32 s0, 0x800000
	s_waitcnt lgkmcnt(0)
	v_mul_f32_e32 v6, 0x4b800000, v0
	v_cmp_gt_f32_e32 vcc, s0, v0
	v_cndmask_b32_e32 v0, v0, v6, vcc
	v_rsq_f32_e32 v0, v0
	v_sub_f32_e32 v1, v3, v1
	s_mov_b32 s0, 0x7f800000
	v_mul_f32_e32 v3, 0x45800000, v0
	v_cndmask_b32_e32 v0, v0, v3, vcc
	v_mul_f32_e32 v0, v1, v0
	s_waitcnt vmcnt(1)
	v_lshlrev_b32_e32 v3, 16, v4
	s_waitcnt vmcnt(0)
	v_lshlrev_b32_e32 v1, 16, v5
	v_fmac_f32_e32 v1, v0, v3
	v_and_b32_e32 v0, 0x7f800000, v1
	v_cmp_ne_u32_e32 vcc, s0, v0
                                        ; implicit-def: $vgpr0
	s_and_saveexec_b64 s[0:1], vcc
	s_xor_b64 s[0:1], exec, s[0:1]
; %bb.24:
	v_bfe_u32 v0, v1, 16, 1
	s_movk_i32 s2, 0x7fff
	v_add3_u32 v0, v1, v0, s2
                                        ; implicit-def: $vgpr1
; %bb.25:
	s_andn2_saveexec_b64 s[0:1], s[0:1]
; %bb.26:
	v_mov_b32_e32 v0, 0
	v_or_b32_e32 v3, 0x10000, v1
	v_cmp_eq_u32_sdwa vcc, v1, v0 src0_sel:WORD_0 src1_sel:DWORD
	v_cndmask_b32_e32 v0, v3, v1, vcc
; %bb.27:
	s_or_b64 exec, exec, s[0:1]
	v_mov_b32_e32 v3, 0
	v_lshlrev_b64 v[2:3], 1, v[2:3]
	v_mov_b32_e32 v1, s13
	v_add_co_u32_e32 v2, vcc, s12, v2
	v_addc_co_u32_e32 v3, vcc, v1, v3, vcc
	global_store_short_d16_hi v[2:3], v0, off
.LBB21_28:
	s_endpgm
	.section	.rodata,"a",@progbits
	.p2align	6, 0x0
	.amdhsa_kernel _Z28addBiasResidualPostLayerNormI14__hip_bfloat16Li1ELi32EEvPT_PKS1_S4_S4_S4_fi
		.amdhsa_group_segment_fixed_size 136
		.amdhsa_private_segment_fixed_size 0
		.amdhsa_kernarg_size 304
		.amdhsa_user_sgpr_count 6
		.amdhsa_user_sgpr_private_segment_buffer 1
		.amdhsa_user_sgpr_dispatch_ptr 0
		.amdhsa_user_sgpr_queue_ptr 0
		.amdhsa_user_sgpr_kernarg_segment_ptr 1
		.amdhsa_user_sgpr_dispatch_id 0
		.amdhsa_user_sgpr_flat_scratch_init 0
		.amdhsa_user_sgpr_kernarg_preload_length 0
		.amdhsa_user_sgpr_kernarg_preload_offset 0
		.amdhsa_user_sgpr_private_segment_size 0
		.amdhsa_uses_dynamic_stack 0
		.amdhsa_system_sgpr_private_segment_wavefront_offset 0
		.amdhsa_system_sgpr_workgroup_id_x 1
		.amdhsa_system_sgpr_workgroup_id_y 0
		.amdhsa_system_sgpr_workgroup_id_z 0
		.amdhsa_system_sgpr_workgroup_info 0
		.amdhsa_system_vgpr_workitem_id 0
		.amdhsa_next_free_vgpr 17
		.amdhsa_next_free_sgpr 20
		.amdhsa_accum_offset 20
		.amdhsa_reserve_vcc 1
		.amdhsa_reserve_flat_scratch 0
		.amdhsa_float_round_mode_32 0
		.amdhsa_float_round_mode_16_64 0
		.amdhsa_float_denorm_mode_32 3
		.amdhsa_float_denorm_mode_16_64 3
		.amdhsa_dx10_clamp 1
		.amdhsa_ieee_mode 1
		.amdhsa_fp16_overflow 0
		.amdhsa_tg_split 0
		.amdhsa_exception_fp_ieee_invalid_op 0
		.amdhsa_exception_fp_denorm_src 0
		.amdhsa_exception_fp_ieee_div_zero 0
		.amdhsa_exception_fp_ieee_overflow 0
		.amdhsa_exception_fp_ieee_underflow 0
		.amdhsa_exception_fp_ieee_inexact 0
		.amdhsa_exception_int_div_zero 0
	.end_amdhsa_kernel
	.section	.text._Z28addBiasResidualPostLayerNormI14__hip_bfloat16Li1ELi32EEvPT_PKS1_S4_S4_S4_fi,"axG",@progbits,_Z28addBiasResidualPostLayerNormI14__hip_bfloat16Li1ELi32EEvPT_PKS1_S4_S4_S4_fi,comdat
.Lfunc_end21:
	.size	_Z28addBiasResidualPostLayerNormI14__hip_bfloat16Li1ELi32EEvPT_PKS1_S4_S4_S4_fi, .Lfunc_end21-_Z28addBiasResidualPostLayerNormI14__hip_bfloat16Li1ELi32EEvPT_PKS1_S4_S4_S4_fi
                                        ; -- End function
	.section	.AMDGPU.csdata,"",@progbits
; Kernel info:
; codeLenInByte = 1416
; NumSgprs: 24
; NumVgprs: 17
; NumAgprs: 0
; TotalNumVgprs: 17
; ScratchSize: 0
; MemoryBound: 0
; FloatMode: 240
; IeeeMode: 1
; LDSByteSize: 136 bytes/workgroup (compile time only)
; SGPRBlocks: 2
; VGPRBlocks: 2
; NumSGPRsForWavesPerEU: 24
; NumVGPRsForWavesPerEU: 17
; AccumOffset: 20
; Occupancy: 8
; WaveLimiterHint : 0
; COMPUTE_PGM_RSRC2:SCRATCH_EN: 0
; COMPUTE_PGM_RSRC2:USER_SGPR: 6
; COMPUTE_PGM_RSRC2:TRAP_HANDLER: 0
; COMPUTE_PGM_RSRC2:TGID_X_EN: 1
; COMPUTE_PGM_RSRC2:TGID_Y_EN: 0
; COMPUTE_PGM_RSRC2:TGID_Z_EN: 0
; COMPUTE_PGM_RSRC2:TIDIG_COMP_CNT: 0
; COMPUTE_PGM_RSRC3_GFX90A:ACCUM_OFFSET: 4
; COMPUTE_PGM_RSRC3_GFX90A:TG_SPLIT: 0
	.section	.text._Z28addBiasResidualPostLayerNormI14__hip_bfloat16Li2ELi32EEvPT_PKS1_S4_S4_S4_fi,"axG",@progbits,_Z28addBiasResidualPostLayerNormI14__hip_bfloat16Li2ELi32EEvPT_PKS1_S4_S4_S4_fi,comdat
	.protected	_Z28addBiasResidualPostLayerNormI14__hip_bfloat16Li2ELi32EEvPT_PKS1_S4_S4_S4_fi ; -- Begin function _Z28addBiasResidualPostLayerNormI14__hip_bfloat16Li2ELi32EEvPT_PKS1_S4_S4_S4_fi
	.globl	_Z28addBiasResidualPostLayerNormI14__hip_bfloat16Li2ELi32EEvPT_PKS1_S4_S4_S4_fi
	.p2align	8
	.type	_Z28addBiasResidualPostLayerNormI14__hip_bfloat16Li2ELi32EEvPT_PKS1_S4_S4_S4_fi,@function
_Z28addBiasResidualPostLayerNormI14__hip_bfloat16Li2ELi32EEvPT_PKS1_S4_S4_S4_fi: ; @_Z28addBiasResidualPostLayerNormI14__hip_bfloat16Li2ELi32EEvPT_PKS1_S4_S4_S4_fi
; %bb.0:
	s_load_dwordx2 s[18:19], s[4:5], 0x28
	s_load_dwordx2 s[16:17], s[4:5], 0x0
	s_load_dwordx4 s[8:11], s[4:5], 0x18
	v_mov_b32_e32 v1, 0
	v_lshlrev_b32_e32 v8, 1, v0
	s_waitcnt lgkmcnt(0)
	s_mul_i32 s20, s6, s19
	v_cmp_gt_i32_e64 s[0:1], s19, v0
	v_add_u32_e32 v2, s20, v0
                                        ; implicit-def: $vgpr5
	s_and_saveexec_b64 s[2:3], s[0:1]
	s_cbranch_execz .LBB22_20
; %bb.1:
	s_load_dwordx4 s[12:15], s[4:5], 0x8
	v_mov_b32_e32 v3, 0
	v_lshlrev_b64 v[4:5], 1, v[2:3]
	v_mov_b32_e32 v1, s17
	v_add_co_u32_e32 v6, vcc, s16, v4
	v_addc_co_u32_e32 v7, vcc, v1, v5, vcc
	s_waitcnt lgkmcnt(0)
	v_mov_b32_e32 v1, s13
	v_add_co_u32_e32 v4, vcc, s12, v4
	v_addc_co_u32_e32 v5, vcc, v1, v5, vcc
	global_load_ushort v3, v[6:7], off
	global_load_ushort v9, v[4:5], off
	global_load_ushort v1, v8, s[14:15]
	s_mov_b32 s6, 0x7f800000
	s_waitcnt vmcnt(2)
	v_lshlrev_b32_e32 v4, 16, v3
	s_waitcnt vmcnt(1)
	v_lshlrev_b32_e32 v6, 16, v9
	v_pk_add_f32 v[4:5], v[6:7], v[4:5] op_sel_hi:[0,1]
	v_and_b32_e32 v3, 0x7f800000, v4
	v_cmp_ne_u32_e32 vcc, s6, v3
                                        ; implicit-def: $vgpr3
	s_and_saveexec_b64 s[6:7], vcc
	s_xor_b64 s[6:7], exec, s[6:7]
; %bb.2:
	v_bfe_u32 v3, v4, 16, 1
	s_movk_i32 s21, 0x7fff
	v_add3_u32 v3, v4, v3, s21
                                        ; implicit-def: $vgpr4_vgpr5
; %bb.3:
	s_andn2_saveexec_b64 s[6:7], s[6:7]
; %bb.4:
	v_mov_b32_e32 v3, 0
	v_or_b32_e32 v5, 0x10000, v4
	v_cmp_eq_u32_sdwa vcc, v4, v3 src0_sel:WORD_0 src1_sel:DWORD
	v_cndmask_b32_e32 v3, v5, v4, vcc
; %bb.5:
	s_or_b64 exec, exec, s[6:7]
	v_and_b32_e32 v3, 0xffff0000, v3
	s_waitcnt vmcnt(0)
	v_lshlrev_b32_e32 v1, 16, v1
	v_add_f32_e32 v1, v1, v3
	s_mov_b32 s6, 0x7f800000
	v_and_b32_e32 v3, 0x7f800000, v1
	v_cmp_ne_u32_e32 vcc, s6, v3
                                        ; implicit-def: $vgpr3
	s_and_saveexec_b64 s[6:7], vcc
	s_xor_b64 s[6:7], exec, s[6:7]
; %bb.6:
	v_bfe_u32 v3, v1, 16, 1
	s_movk_i32 s21, 0x7fff
	v_add3_u32 v3, v1, v3, s21
                                        ; implicit-def: $vgpr1
; %bb.7:
	s_or_saveexec_b64 s[6:7], s[6:7]
	s_load_dword s21, s[4:5], 0x3c
	s_xor_b64 exec, exec, s[6:7]
; %bb.8:
	v_mov_b32_e32 v3, 0
	v_or_b32_e32 v4, 0x10000, v1
	v_cmp_eq_u32_sdwa vcc, v1, v3 src0_sel:WORD_0 src1_sel:DWORD
	v_cndmask_b32_e32 v3, v4, v1, vcc
; %bb.9:
	s_or_b64 exec, exec, s[6:7]
	s_waitcnt lgkmcnt(0)
	s_and_b32 s21, 0xffff, s21
	v_and_b32_e32 v4, 0xffff0000, v3
	v_add_u32_e32 v3, s21, v0
	v_add_f32_e32 v1, 0, v4
	v_cmp_gt_u32_e32 vcc, s19, v3
	s_and_saveexec_b64 s[6:7], vcc
	s_cbranch_execz .LBB22_19
; %bb.10:
	v_mov_b32_e32 v5, s15
	v_add_co_u32_e32 v9, vcc, s14, v8
	v_add_u32_e32 v6, s20, v3
	v_mov_b32_e32 v7, 0
	v_addc_co_u32_e32 v5, vcc, 0, v5, vcc
	v_lshlrev_b64 v[6:7], 1, v[6:7]
	v_mov_b32_e32 v3, s17
	v_add_co_u32_e32 v10, vcc, s16, v6
	v_addc_co_u32_e32 v11, vcc, v3, v7, vcc
	v_mov_b32_e32 v3, s13
	v_add_co_u32_e32 v6, vcc, s12, v6
	v_addc_co_u32_e32 v7, vcc, v3, v7, vcc
	global_load_ushort v12, v[6:7], off
	global_load_ushort v13, v[10:11], off
	s_lshl_b32 s12, s21, 1
	v_add_co_u32_e32 v6, vcc, s12, v9
	v_addc_co_u32_e32 v7, vcc, 0, v5, vcc
	global_load_ushort v3, v[6:7], off
	s_mov_b32 s12, 0x7f800000
	s_waitcnt vmcnt(2)
	v_lshlrev_b32_e32 v6, 16, v12
	s_waitcnt vmcnt(1)
	v_lshlrev_b32_e32 v10, 16, v13
	v_pk_add_f32 v[6:7], v[6:7], v[10:11] op_sel_hi:[0,1]
	v_and_b32_e32 v5, 0x7f800000, v6
	v_cmp_ne_u32_e32 vcc, s12, v5
                                        ; implicit-def: $vgpr5
	s_and_saveexec_b64 s[12:13], vcc
	s_xor_b64 s[12:13], exec, s[12:13]
; %bb.11:
	v_bfe_u32 v5, v6, 16, 1
	s_movk_i32 s14, 0x7fff
	v_add3_u32 v5, v6, v5, s14
                                        ; implicit-def: $vgpr6_vgpr7
; %bb.12:
	s_andn2_saveexec_b64 s[12:13], s[12:13]
; %bb.13:
	v_mov_b32_e32 v5, 0
	v_or_b32_e32 v7, 0x10000, v6
	v_cmp_eq_u32_sdwa vcc, v6, v5 src0_sel:WORD_0 src1_sel:DWORD
	v_cndmask_b32_e32 v5, v7, v6, vcc
; %bb.14:
	s_or_b64 exec, exec, s[12:13]
	v_and_b32_e32 v5, 0xffff0000, v5
	s_waitcnt vmcnt(0)
	v_lshlrev_b32_e32 v3, 16, v3
	v_add_f32_e32 v3, v3, v5
	s_mov_b32 s12, 0x7f800000
	v_and_b32_e32 v5, 0x7f800000, v3
	v_cmp_ne_u32_e32 vcc, s12, v5
                                        ; implicit-def: $vgpr5
	s_and_saveexec_b64 s[12:13], vcc
	s_xor_b64 s[12:13], exec, s[12:13]
; %bb.15:
	v_bfe_u32 v5, v3, 16, 1
	s_movk_i32 s14, 0x7fff
	v_add3_u32 v5, v3, v5, s14
                                        ; implicit-def: $vgpr3
; %bb.16:
	s_andn2_saveexec_b64 s[12:13], s[12:13]
; %bb.17:
	v_mov_b32_e32 v5, 0
	v_or_b32_e32 v6, 0x10000, v3
	v_cmp_eq_u32_sdwa vcc, v3, v5 src0_sel:WORD_0 src1_sel:DWORD
	v_cndmask_b32_e32 v5, v6, v3, vcc
; %bb.18:
	s_or_b64 exec, exec, s[12:13]
	v_and_b32_e32 v5, 0xffff0000, v5
	v_add_f32_e32 v1, v1, v5
.LBB22_19:
	s_or_b64 exec, exec, s[6:7]
.LBB22_20:
	s_or_b64 exec, exec, s[2:3]
	v_mbcnt_lo_u32_b32 v3, -1, 0
	v_mbcnt_hi_u32_b32 v6, -1, v3
	v_and_b32_e32 v3, 0x60, v6
	v_add_u32_e32 v10, 32, v3
	v_xor_b32_e32 v3, 16, v6
	v_cmp_lt_i32_e32 vcc, v3, v10
	v_cndmask_b32_e32 v3, v6, v3, vcc
	v_lshlrev_b32_e32 v3, 2, v3
	ds_bpermute_b32 v7, v3, v1
	v_xor_b32_e32 v9, 8, v6
	v_cmp_lt_i32_e32 vcc, v9, v10
	v_xor_b32_e32 v11, 4, v6
	v_xor_b32_e32 v12, 2, v6
	s_waitcnt lgkmcnt(0)
	v_add_f32_e32 v7, v1, v7
	v_cndmask_b32_e32 v1, v6, v9, vcc
	v_lshlrev_b32_e32 v1, 2, v1
	ds_bpermute_b32 v9, v1, v7
	v_cmp_lt_i32_e32 vcc, v11, v10
	v_xor_b32_e32 v13, 1, v6
	s_waitcnt lgkmcnt(0)
	v_add_f32_e32 v9, v7, v9
	v_cndmask_b32_e32 v7, v6, v11, vcc
	v_lshlrev_b32_e32 v7, 2, v7
	ds_bpermute_b32 v11, v7, v9
	v_cmp_lt_i32_e32 vcc, v12, v10
	s_waitcnt lgkmcnt(0)
	v_add_f32_e32 v11, v9, v11
	v_cndmask_b32_e32 v9, v6, v12, vcc
	v_lshlrev_b32_e32 v9, 2, v9
	ds_bpermute_b32 v12, v9, v11
	v_cmp_lt_i32_e32 vcc, v13, v10
	v_cndmask_b32_e32 v6, v6, v13, vcc
	v_lshlrev_b32_e32 v10, 2, v6
	v_and_b32_e32 v6, 31, v0
	s_waitcnt lgkmcnt(0)
	v_add_f32_e32 v11, v11, v12
	ds_bpermute_b32 v13, v10, v11
	v_cmp_eq_u32_e64 s[2:3], 0, v6
	v_lshrrev_b32_e32 v12, 3, v0
	s_and_saveexec_b64 s[6:7], s[2:3]
	s_cbranch_execz .LBB22_22
; %bb.21:
	s_waitcnt lgkmcnt(0)
	v_add_f32_e32 v11, v11, v13
	ds_write_b32 v12, v11
.LBB22_22:
	s_or_b64 exec, exec, s[6:7]
	s_waitcnt lgkmcnt(0)
	s_barrier
	s_load_dword s12, s[4:5], 0x3c
	v_mov_b32_e32 v11, 0
	v_lshlrev_b32_e32 v13, 2, v6
	s_waitcnt lgkmcnt(0)
	s_bfe_u32 s4, s12, 0xb0005
	v_cmp_gt_u32_e64 s[4:5], s4, v0
	s_and_saveexec_b64 s[6:7], s[4:5]
	s_cbranch_execz .LBB22_24
; %bb.23:
	ds_read_b32 v11, v13
.LBB22_24:
	s_or_b64 exec, exec, s[6:7]
	s_waitcnt lgkmcnt(0)
	ds_bpermute_b32 v6, v3, v11
	s_and_b32 s14, s12, 0xffff
	v_cmp_eq_u32_e64 s[6:7], 0, v0
	s_waitcnt lgkmcnt(0)
	v_add_f32_e32 v6, v11, v6
	ds_bpermute_b32 v11, v1, v6
	s_waitcnt lgkmcnt(0)
	v_add_f32_e32 v6, v6, v11
	ds_bpermute_b32 v11, v7, v6
	;; [unrolled: 3-line block ×4, first 2 shown]
	v_cvt_f32_i32_e32 v11, s19
	s_and_saveexec_b64 s[12:13], s[6:7]
	s_cbranch_execz .LBB22_26
; %bb.25:
	s_waitcnt lgkmcnt(0)
	v_add_f32_e32 v6, v6, v14
	v_div_scale_f32 v14, s[22:23], v11, v11, v6
	v_rcp_f32_e32 v15, v14
	v_div_scale_f32 v16, vcc, v6, v11, v6
	v_fma_f32 v17, -v14, v15, 1.0
	v_fmac_f32_e32 v15, v17, v15
	v_mul_f32_e32 v17, v16, v15
	v_fma_f32 v18, -v14, v17, v16
	v_fmac_f32_e32 v17, v18, v15
	v_fma_f32 v14, -v14, v17, v16
	v_div_fmas_f32 v14, v14, v15, v17
	v_div_fixup_f32 v6, v14, v11, v6
	v_mov_b32_e32 v14, 0
	ds_write_b32 v14, v6 offset:132
.LBB22_26:
	s_or_b64 exec, exec, s[12:13]
	s_waitcnt lgkmcnt(0)
	v_mov_b32_e32 v14, 0
	v_add_u32_e32 v6, s14, v0
	s_barrier
	s_and_saveexec_b64 s[12:13], s[0:1]
	s_cbranch_execz .LBB22_28
; %bb.27:
	v_mov_b32_e32 v0, 0
	ds_read_b32 v0, v0 offset:132
	v_cmp_gt_u32_e32 vcc, s19, v6
	s_waitcnt lgkmcnt(0)
	v_pk_add_f32 v[14:15], v[4:5], v[0:1] op_sel_hi:[1,0] neg_lo:[0,1] neg_hi:[0,1]
	v_pk_mul_f32 v[14:15], v[14:15], v[14:15]
	v_add_f32_e32 v0, v14, v15
	v_cndmask_b32_e32 v14, v14, v0, vcc
.LBB22_28:
	s_or_b64 exec, exec, s[12:13]
	ds_bpermute_b32 v0, v3, v14
	s_waitcnt lgkmcnt(0)
	v_add_f32_e32 v0, v14, v0
	ds_bpermute_b32 v14, v1, v0
	s_waitcnt lgkmcnt(0)
	v_add_f32_e32 v0, v0, v14
	;; [unrolled: 3-line block ×4, first 2 shown]
	ds_bpermute_b32 v14, v10, v0
	s_and_saveexec_b64 s[12:13], s[2:3]
	s_cbranch_execz .LBB22_30
; %bb.29:
	s_waitcnt lgkmcnt(0)
	v_add_f32_e32 v0, v0, v14
	ds_write_b32 v12, v0
.LBB22_30:
	s_or_b64 exec, exec, s[12:13]
	v_mov_b32_e32 v0, 0
	s_waitcnt lgkmcnt(0)
	s_barrier
	s_and_saveexec_b64 s[2:3], s[4:5]
	s_cbranch_execz .LBB22_32
; %bb.31:
	ds_read_b32 v0, v13
.LBB22_32:
	s_or_b64 exec, exec, s[2:3]
	s_waitcnt lgkmcnt(0)
	ds_bpermute_b32 v3, v3, v0
	s_waitcnt lgkmcnt(0)
	v_add_f32_e32 v0, v0, v3
	ds_bpermute_b32 v1, v1, v0
	s_waitcnt lgkmcnt(0)
	v_add_f32_e32 v0, v0, v1
	;; [unrolled: 3-line block ×4, first 2 shown]
	ds_bpermute_b32 v1, v10, v0
	s_and_saveexec_b64 s[2:3], s[6:7]
	s_cbranch_execz .LBB22_34
; %bb.33:
	s_waitcnt lgkmcnt(0)
	v_add_f32_e32 v0, v0, v1
	v_div_scale_f32 v1, s[4:5], v11, v11, v0
	v_rcp_f32_e32 v3, v1
	v_div_scale_f32 v7, vcc, v0, v11, v0
	v_fma_f32 v9, -v1, v3, 1.0
	v_fmac_f32_e32 v3, v9, v3
	v_mul_f32_e32 v9, v7, v3
	v_fma_f32 v10, -v1, v9, v7
	v_fmac_f32_e32 v9, v10, v3
	v_fma_f32 v1, -v1, v9, v7
	v_div_fmas_f32 v1, v1, v3, v9
	v_div_fixup_f32 v0, v1, v11, v0
	v_add_f32_e32 v0, s18, v0
	v_mov_b32_e32 v1, 0
	ds_write_b32 v1, v0 offset:128
.LBB22_34:
	s_or_b64 exec, exec, s[2:3]
	s_waitcnt lgkmcnt(0)
	s_barrier
	s_and_saveexec_b64 s[2:3], s[0:1]
	s_cbranch_execz .LBB22_45
; %bb.35:
	global_load_ushort v3, v8, s[8:9]
	global_load_ushort v7, v8, s[10:11]
	v_mov_b32_e32 v0, 0
	ds_read_b64 v[0:1], v0 offset:128
	s_mov_b32 s0, 0x800000
	s_waitcnt lgkmcnt(0)
	v_mul_f32_e32 v9, 0x4b800000, v0
	v_cmp_gt_f32_e32 vcc, s0, v0
	v_cndmask_b32_e32 v0, v0, v9, vcc
	v_rsq_f32_e32 v0, v0
	v_sub_f32_e32 v4, v4, v1
	s_mov_b32 s0, 0x7f800000
	v_mul_f32_e32 v9, 0x45800000, v0
	v_cndmask_b32_e32 v0, v0, v9, vcc
	v_mul_f32_e32 v4, v4, v0
	s_waitcnt vmcnt(1)
	v_lshlrev_b32_e32 v9, 16, v3
	s_waitcnt vmcnt(0)
	v_lshlrev_b32_e32 v3, 16, v7
	v_fmac_f32_e32 v3, v4, v9
	v_and_b32_e32 v4, 0x7f800000, v3
	v_cmp_ne_u32_e32 vcc, s0, v4
                                        ; implicit-def: $vgpr4
	s_and_saveexec_b64 s[0:1], vcc
	s_xor_b64 s[0:1], exec, s[0:1]
; %bb.36:
	v_bfe_u32 v4, v3, 16, 1
	s_movk_i32 s2, 0x7fff
	v_add3_u32 v4, v3, v4, s2
                                        ; implicit-def: $vgpr3
; %bb.37:
	s_andn2_saveexec_b64 s[0:1], s[0:1]
; %bb.38:
	v_mov_b32_e32 v4, 0
	v_or_b32_e32 v7, 0x10000, v3
	v_cmp_eq_u32_sdwa vcc, v3, v4 src0_sel:WORD_0 src1_sel:DWORD
	v_cndmask_b32_e32 v4, v7, v3, vcc
; %bb.39:
	s_or_b64 exec, exec, s[0:1]
	v_mov_b32_e32 v3, 0
	v_lshlrev_b64 v[2:3], 1, v[2:3]
	v_mov_b32_e32 v7, s17
	v_add_co_u32_e32 v2, vcc, s16, v2
	v_addc_co_u32_e32 v3, vcc, v7, v3, vcc
	v_cmp_gt_u32_e32 vcc, s19, v6
	global_store_short_d16_hi v[2:3], v4, off
	s_and_b64 exec, exec, vcc
	s_cbranch_execz .LBB22_45
; %bb.40:
	v_mov_b32_e32 v2, s9
	v_add_co_u32_e32 v4, vcc, s8, v8
	v_addc_co_u32_e32 v7, vcc, 0, v2, vcc
	v_mov_b32_e32 v3, s11
	v_add_co_u32_e32 v8, vcc, s10, v8
	v_addc_co_u32_e32 v9, vcc, 0, v3, vcc
	s_lshl_b32 s0, s14, 1
	v_add_co_u32_e32 v2, vcc, s0, v4
	v_addc_co_u32_e32 v3, vcc, 0, v7, vcc
	global_load_ushort v4, v[2:3], off
	v_add_co_u32_e32 v2, vcc, s0, v8
	v_addc_co_u32_e32 v3, vcc, 0, v9, vcc
	global_load_ushort v2, v[2:3], off
	v_sub_f32_e32 v1, v5, v1
	v_mul_f32_e32 v0, v1, v0
	s_mov_b32 s0, 0x7f800000
	s_waitcnt vmcnt(1)
	v_lshlrev_b32_e32 v3, 16, v4
	s_waitcnt vmcnt(0)
	v_lshlrev_b32_e32 v1, 16, v2
	v_fmac_f32_e32 v1, v0, v3
	v_and_b32_e32 v0, 0x7f800000, v1
	v_cmp_ne_u32_e32 vcc, s0, v0
                                        ; implicit-def: $vgpr0
	s_and_saveexec_b64 s[0:1], vcc
	s_xor_b64 s[0:1], exec, s[0:1]
; %bb.41:
	v_bfe_u32 v0, v1, 16, 1
	s_movk_i32 s2, 0x7fff
	v_add3_u32 v0, v1, v0, s2
                                        ; implicit-def: $vgpr1
; %bb.42:
	s_andn2_saveexec_b64 s[0:1], s[0:1]
; %bb.43:
	v_mov_b32_e32 v0, 0
	v_or_b32_e32 v2, 0x10000, v1
	v_cmp_eq_u32_sdwa vcc, v1, v0 src0_sel:WORD_0 src1_sel:DWORD
	v_cndmask_b32_e32 v0, v2, v1, vcc
; %bb.44:
	s_or_b64 exec, exec, s[0:1]
	v_add_u32_e32 v2, s20, v6
	v_mov_b32_e32 v3, 0
	v_lshlrev_b64 v[2:3], 1, v[2:3]
	v_mov_b32_e32 v1, s17
	v_add_co_u32_e32 v2, vcc, s16, v2
	v_addc_co_u32_e32 v3, vcc, v1, v3, vcc
	global_store_short_d16_hi v[2:3], v0, off
.LBB22_45:
	s_endpgm
	.section	.rodata,"a",@progbits
	.p2align	6, 0x0
	.amdhsa_kernel _Z28addBiasResidualPostLayerNormI14__hip_bfloat16Li2ELi32EEvPT_PKS1_S4_S4_S4_fi
		.amdhsa_group_segment_fixed_size 136
		.amdhsa_private_segment_fixed_size 0
		.amdhsa_kernarg_size 304
		.amdhsa_user_sgpr_count 6
		.amdhsa_user_sgpr_private_segment_buffer 1
		.amdhsa_user_sgpr_dispatch_ptr 0
		.amdhsa_user_sgpr_queue_ptr 0
		.amdhsa_user_sgpr_kernarg_segment_ptr 1
		.amdhsa_user_sgpr_dispatch_id 0
		.amdhsa_user_sgpr_flat_scratch_init 0
		.amdhsa_user_sgpr_kernarg_preload_length 0
		.amdhsa_user_sgpr_kernarg_preload_offset 0
		.amdhsa_user_sgpr_private_segment_size 0
		.amdhsa_uses_dynamic_stack 0
		.amdhsa_system_sgpr_private_segment_wavefront_offset 0
		.amdhsa_system_sgpr_workgroup_id_x 1
		.amdhsa_system_sgpr_workgroup_id_y 0
		.amdhsa_system_sgpr_workgroup_id_z 0
		.amdhsa_system_sgpr_workgroup_info 0
		.amdhsa_system_vgpr_workitem_id 0
		.amdhsa_next_free_vgpr 19
		.amdhsa_next_free_sgpr 24
		.amdhsa_accum_offset 20
		.amdhsa_reserve_vcc 1
		.amdhsa_reserve_flat_scratch 0
		.amdhsa_float_round_mode_32 0
		.amdhsa_float_round_mode_16_64 0
		.amdhsa_float_denorm_mode_32 3
		.amdhsa_float_denorm_mode_16_64 3
		.amdhsa_dx10_clamp 1
		.amdhsa_ieee_mode 1
		.amdhsa_fp16_overflow 0
		.amdhsa_tg_split 0
		.amdhsa_exception_fp_ieee_invalid_op 0
		.amdhsa_exception_fp_denorm_src 0
		.amdhsa_exception_fp_ieee_div_zero 0
		.amdhsa_exception_fp_ieee_overflow 0
		.amdhsa_exception_fp_ieee_underflow 0
		.amdhsa_exception_fp_ieee_inexact 0
		.amdhsa_exception_int_div_zero 0
	.end_amdhsa_kernel
	.section	.text._Z28addBiasResidualPostLayerNormI14__hip_bfloat16Li2ELi32EEvPT_PKS1_S4_S4_S4_fi,"axG",@progbits,_Z28addBiasResidualPostLayerNormI14__hip_bfloat16Li2ELi32EEvPT_PKS1_S4_S4_S4_fi,comdat
.Lfunc_end22:
	.size	_Z28addBiasResidualPostLayerNormI14__hip_bfloat16Li2ELi32EEvPT_PKS1_S4_S4_S4_fi, .Lfunc_end22-_Z28addBiasResidualPostLayerNormI14__hip_bfloat16Li2ELi32EEvPT_PKS1_S4_S4_S4_fi
                                        ; -- End function
	.section	.AMDGPU.csdata,"",@progbits
; Kernel info:
; codeLenInByte = 2024
; NumSgprs: 28
; NumVgprs: 19
; NumAgprs: 0
; TotalNumVgprs: 19
; ScratchSize: 0
; MemoryBound: 0
; FloatMode: 240
; IeeeMode: 1
; LDSByteSize: 136 bytes/workgroup (compile time only)
; SGPRBlocks: 3
; VGPRBlocks: 2
; NumSGPRsForWavesPerEU: 28
; NumVGPRsForWavesPerEU: 19
; AccumOffset: 20
; Occupancy: 8
; WaveLimiterHint : 0
; COMPUTE_PGM_RSRC2:SCRATCH_EN: 0
; COMPUTE_PGM_RSRC2:USER_SGPR: 6
; COMPUTE_PGM_RSRC2:TRAP_HANDLER: 0
; COMPUTE_PGM_RSRC2:TGID_X_EN: 1
; COMPUTE_PGM_RSRC2:TGID_Y_EN: 0
; COMPUTE_PGM_RSRC2:TGID_Z_EN: 0
; COMPUTE_PGM_RSRC2:TIDIG_COMP_CNT: 0
; COMPUTE_PGM_RSRC3_GFX90A:ACCUM_OFFSET: 4
; COMPUTE_PGM_RSRC3_GFX90A:TG_SPLIT: 0
	.section	.text._Z35generalAddBiasResidualPostLayerNormI14__hip_bfloat16Li32EEvPT_PKS1_S4_S4_S4_fi,"axG",@progbits,_Z35generalAddBiasResidualPostLayerNormI14__hip_bfloat16Li32EEvPT_PKS1_S4_S4_S4_fi,comdat
	.protected	_Z35generalAddBiasResidualPostLayerNormI14__hip_bfloat16Li32EEvPT_PKS1_S4_S4_S4_fi ; -- Begin function _Z35generalAddBiasResidualPostLayerNormI14__hip_bfloat16Li32EEvPT_PKS1_S4_S4_S4_fi
	.globl	_Z35generalAddBiasResidualPostLayerNormI14__hip_bfloat16Li32EEvPT_PKS1_S4_S4_S4_fi
	.p2align	8
	.type	_Z35generalAddBiasResidualPostLayerNormI14__hip_bfloat16Li32EEvPT_PKS1_S4_S4_S4_fi,@function
_Z35generalAddBiasResidualPostLayerNormI14__hip_bfloat16Li32EEvPT_PKS1_S4_S4_S4_fi: ; @_Z35generalAddBiasResidualPostLayerNormI14__hip_bfloat16Li32EEvPT_PKS1_S4_S4_S4_fi
; %bb.0:
	s_load_dwordx2 s[12:13], s[4:5], 0x28
	s_load_dwordx2 s[20:21], s[4:5], 0x0
	s_load_dwordx4 s[16:19], s[4:5], 0x18
	v_mov_b32_e32 v1, 0
	s_waitcnt lgkmcnt(0)
	s_lshr_b32 s0, s13, 31
	s_add_i32 s0, s13, s0
	s_ashr_i32 s28, s0, 1
	v_cmp_gt_i32_e64 s[0:1], s28, v0
	s_mul_i32 s14, s6, s13
	s_and_saveexec_b64 s[2:3], s[0:1]
	s_cbranch_execz .LBB23_20
; %bb.1:
	s_load_dword s6, s[4:5], 0x3c
	s_load_dwordx4 s[8:11], s[4:5], 0x8
	v_lshlrev_b32_e32 v1, 2, v0
	s_mov_b32 s26, 0
	s_lshr_b32 s15, s14, 1
	s_waitcnt lgkmcnt(0)
	s_and_b32 s22, s6, 0xffff
	v_mov_b32_e32 v2, s11
	v_add_co_u32_e32 v1, vcc, s10, v1
	v_addc_co_u32_e32 v3, vcc, 0, v2, vcc
	v_add_co_u32_e32 v2, vcc, 2, v1
	v_addc_co_u32_e32 v3, vcc, 0, v3, vcc
	s_lshl_b32 s23, s22, 2
	s_mov_b64 s[6:7], 0
	v_mov_b32_e32 v8, 0
	v_mov_b32_e32 v9, s21
	;; [unrolled: 1-line block ×3, first 2 shown]
	s_mov_b32 s9, 0x7f800000
	s_movk_i32 s24, 0x7fff
	s_mov_b32 s25, 0x7060302
	v_mov_b32_e32 v11, s26
	v_mov_b32_e32 v1, 0
	v_mov_b32_e32 v12, v0
	s_branch .LBB23_3
.LBB23_2:                               ;   in Loop: Header=BB23_3 Depth=1
	s_or_b64 exec, exec, s[10:11]
	v_add_u32_e32 v12, s22, v12
	v_and_b32_e32 v13, 0xffff0000, v6
	v_cmp_le_i32_e32 vcc, s28, v12
	v_and_b32_e32 v14, 0xffff0000, v7
	v_add_f32_e32 v1, v1, v13
	s_or_b64 s[6:7], vcc, s[6:7]
	v_add_co_u32_e32 v2, vcc, s23, v2
	v_add_f32_e32 v1, v1, v14
	v_perm_b32 v6, v7, v6, s25
	v_addc_co_u32_e32 v3, vcc, v3, v11, vcc
	global_store_dword v[4:5], v6, off
	s_andn2_b64 exec, exec, s[6:7]
	s_cbranch_execz .LBB23_19
.LBB23_3:                               ; =>This Inner Loop Header: Depth=1
	v_add_u32_e32 v4, s15, v12
	v_ashrrev_i32_e32 v5, 31, v4
	v_lshlrev_b64 v[6:7], 2, v[4:5]
	v_add_co_u32_e32 v4, vcc, s20, v6
	v_addc_co_u32_e32 v5, vcc, v9, v7, vcc
	v_add_co_u32_e32 v6, vcc, s8, v6
	v_addc_co_u32_e32 v7, vcc, v10, v7, vcc
	global_load_dword v15, v[6:7], off
	global_load_dword v14, v[4:5], off
                                        ; implicit-def: $vgpr13
	s_waitcnt vmcnt(1)
	v_lshlrev_b32_e32 v6, 16, v15
	s_waitcnt vmcnt(0)
	v_lshlrev_b32_e32 v16, 16, v14
	v_pk_add_f32 v[6:7], v[6:7], v[16:17] op_sel_hi:[0,1]
	v_and_b32_e32 v7, 0x7f800000, v6
	v_cmp_ne_u32_e32 vcc, s9, v7
	s_and_saveexec_b64 s[10:11], vcc
	s_xor_b64 s[10:11], exec, s[10:11]
; %bb.4:                                ;   in Loop: Header=BB23_3 Depth=1
	v_bfe_u32 v7, v6, 16, 1
	v_add3_u32 v13, v6, v7, s24
                                        ; implicit-def: $vgpr6_vgpr7
; %bb.5:                                ;   in Loop: Header=BB23_3 Depth=1
	s_andn2_saveexec_b64 s[10:11], s[10:11]
; %bb.6:                                ;   in Loop: Header=BB23_3 Depth=1
	v_or_b32_e32 v7, 0x10000, v6
	v_cmp_eq_u32_sdwa vcc, v6, v8 src0_sel:WORD_0 src1_sel:DWORD
	v_cndmask_b32_e32 v13, v7, v6, vcc
; %bb.7:                                ;   in Loop: Header=BB23_3 Depth=1
	s_or_b64 exec, exec, s[10:11]
	v_and_b32_e32 v6, 0xffff0000, v15
	v_and_b32_e32 v14, 0xffff0000, v14
	v_pk_add_f32 v[6:7], v[6:7], v[14:15] op_sel_hi:[0,1]
	v_and_b32_e32 v7, 0x7f800000, v6
	v_cmp_ne_u32_e32 vcc, s9, v7
                                        ; implicit-def: $vgpr14
	s_and_saveexec_b64 s[10:11], vcc
	s_xor_b64 s[10:11], exec, s[10:11]
; %bb.8:                                ;   in Loop: Header=BB23_3 Depth=1
	v_bfe_u32 v7, v6, 16, 1
	v_add3_u32 v14, v6, v7, s24
                                        ; implicit-def: $vgpr6_vgpr7
; %bb.9:                                ;   in Loop: Header=BB23_3 Depth=1
	s_andn2_saveexec_b64 s[10:11], s[10:11]
; %bb.10:                               ;   in Loop: Header=BB23_3 Depth=1
	v_or_b32_e32 v7, 0x10000, v6
	v_cmp_eq_u32_sdwa vcc, v6, v8 src0_sel:WORD_0 src1_sel:DWORD
	v_cndmask_b32_e32 v14, v7, v6, vcc
; %bb.11:                               ;   in Loop: Header=BB23_3 Depth=1
	s_or_b64 exec, exec, s[10:11]
	global_load_dword v7, v[2:3], off offset:-2
	v_and_b32_e32 v6, 0xffff0000, v13
	s_waitcnt vmcnt(0)
	v_lshlrev_b32_e32 v13, 16, v7
	v_add_f32_e32 v13, v6, v13
	v_and_b32_e32 v6, 0x7f800000, v13
	v_cmp_ne_u32_e32 vcc, s9, v6
                                        ; implicit-def: $vgpr6
	s_and_saveexec_b64 s[10:11], vcc
	s_xor_b64 s[10:11], exec, s[10:11]
; %bb.12:                               ;   in Loop: Header=BB23_3 Depth=1
	v_bfe_u32 v6, v13, 16, 1
	v_add3_u32 v6, v13, v6, s24
                                        ; implicit-def: $vgpr13
; %bb.13:                               ;   in Loop: Header=BB23_3 Depth=1
	s_andn2_saveexec_b64 s[10:11], s[10:11]
; %bb.14:                               ;   in Loop: Header=BB23_3 Depth=1
	v_or_b32_e32 v6, 0x10000, v13
	v_cmp_eq_u32_sdwa vcc, v13, v8 src0_sel:WORD_0 src1_sel:DWORD
	v_cndmask_b32_e32 v6, v6, v13, vcc
; %bb.15:                               ;   in Loop: Header=BB23_3 Depth=1
	s_or_b64 exec, exec, s[10:11]
	v_and_b32_e32 v13, 0xffff0000, v14
	v_and_b32_e32 v7, 0xffff0000, v7
	v_add_f32_e32 v13, v13, v7
	v_and_b32_e32 v7, 0x7f800000, v13
	v_cmp_ne_u32_e32 vcc, s9, v7
                                        ; implicit-def: $vgpr7
	s_and_saveexec_b64 s[10:11], vcc
	s_xor_b64 s[10:11], exec, s[10:11]
; %bb.16:                               ;   in Loop: Header=BB23_3 Depth=1
	v_bfe_u32 v7, v13, 16, 1
	v_add3_u32 v7, v13, v7, s24
                                        ; implicit-def: $vgpr13
; %bb.17:                               ;   in Loop: Header=BB23_3 Depth=1
	s_andn2_saveexec_b64 s[10:11], s[10:11]
	s_cbranch_execz .LBB23_2
; %bb.18:                               ;   in Loop: Header=BB23_3 Depth=1
	v_or_b32_e32 v7, 0x10000, v13
	v_cmp_eq_u32_sdwa vcc, v13, v8 src0_sel:WORD_0 src1_sel:DWORD
	v_cndmask_b32_e32 v7, v7, v13, vcc
	s_branch .LBB23_2
.LBB23_19:
	s_or_b64 exec, exec, s[6:7]
.LBB23_20:
	s_or_b64 exec, exec, s[2:3]
	v_mbcnt_lo_u32_b32 v2, -1, 0
	v_mbcnt_hi_u32_b32 v2, -1, v2
	v_and_b32_e32 v3, 0x60, v2
	v_add_u32_e32 v7, 32, v3
	v_xor_b32_e32 v3, 16, v2
	v_cmp_lt_i32_e32 vcc, v3, v7
	v_cndmask_b32_e32 v3, v2, v3, vcc
	v_lshlrev_b32_e32 v4, 2, v3
	ds_bpermute_b32 v3, v4, v1
	v_xor_b32_e32 v5, 8, v2
	v_cmp_lt_i32_e32 vcc, v5, v7
	v_xor_b32_e32 v6, 4, v2
	v_xor_b32_e32 v8, 2, v2
	s_waitcnt lgkmcnt(0)
	v_add_f32_e32 v3, v1, v3
	v_cndmask_b32_e32 v1, v2, v5, vcc
	v_lshlrev_b32_e32 v1, 2, v1
	ds_bpermute_b32 v5, v1, v3
	v_cmp_lt_i32_e32 vcc, v6, v7
	v_xor_b32_e32 v9, 1, v2
	s_waitcnt lgkmcnt(0)
	v_add_f32_e32 v3, v3, v5
	v_cndmask_b32_e32 v5, v2, v6, vcc
	v_lshlrev_b32_e32 v5, 2, v5
	ds_bpermute_b32 v6, v5, v3
	v_cmp_lt_i32_e32 vcc, v8, v7
	s_waitcnt lgkmcnt(0)
	v_add_f32_e32 v3, v3, v6
	v_cndmask_b32_e32 v6, v2, v8, vcc
	v_lshlrev_b32_e32 v6, 2, v6
	ds_bpermute_b32 v8, v6, v3
	v_cmp_lt_i32_e32 vcc, v9, v7
	v_cndmask_b32_e32 v2, v2, v9, vcc
	v_lshlrev_b32_e32 v7, 2, v2
	v_and_b32_e32 v2, 31, v0
	s_waitcnt lgkmcnt(0)
	v_add_f32_e32 v3, v3, v8
	ds_bpermute_b32 v8, v7, v3
	v_cmp_eq_u32_e64 s[2:3], 0, v2
	v_lshrrev_b32_e32 v9, 3, v0
	s_and_saveexec_b64 s[6:7], s[2:3]
	s_cbranch_execz .LBB23_22
; %bb.21:
	s_waitcnt lgkmcnt(0)
	v_add_f32_e32 v3, v3, v8
	ds_write_b32 v9, v3
.LBB23_22:
	s_or_b64 exec, exec, s[6:7]
	s_waitcnt lgkmcnt(0)
	s_barrier
	s_load_dword s10, s[4:5], 0x3c
	v_mov_b32_e32 v3, 0
	v_lshlrev_b32_e32 v10, 2, v2
	s_waitcnt lgkmcnt(0)
	s_bfe_u32 s4, s10, 0xb0005
	v_cmp_gt_u32_e64 s[4:5], s4, v0
	s_and_saveexec_b64 s[6:7], s[4:5]
	s_cbranch_execz .LBB23_24
; %bb.23:
	ds_read_b32 v3, v10
.LBB23_24:
	s_or_b64 exec, exec, s[6:7]
	s_waitcnt lgkmcnt(0)
	ds_bpermute_b32 v2, v4, v3
	v_cvt_f32_i32_e32 v8, s13
	v_cmp_eq_u32_e64 s[6:7], 0, v0
	s_waitcnt lgkmcnt(0)
	v_add_f32_e32 v2, v3, v2
	ds_bpermute_b32 v3, v1, v2
	s_waitcnt lgkmcnt(0)
	v_add_f32_e32 v2, v2, v3
	ds_bpermute_b32 v3, v5, v2
	;; [unrolled: 3-line block ×4, first 2 shown]
	s_and_saveexec_b64 s[8:9], s[6:7]
	s_cbranch_execz .LBB23_26
; %bb.25:
	s_waitcnt lgkmcnt(0)
	v_add_f32_e32 v2, v2, v3
	v_div_scale_f32 v3, s[22:23], v8, v8, v2
	v_rcp_f32_e32 v11, v3
	v_div_scale_f32 v12, vcc, v2, v8, v2
	v_fma_f32 v13, -v3, v11, 1.0
	v_fmac_f32_e32 v11, v13, v11
	v_mul_f32_e32 v13, v12, v11
	v_fma_f32 v14, -v3, v13, v12
	v_fmac_f32_e32 v13, v14, v11
	v_fma_f32 v3, -v3, v13, v12
	v_div_fmas_f32 v3, v3, v11, v13
	v_div_fixup_f32 v2, v3, v8, v2
	v_mov_b32_e32 v3, 0
	ds_write_b32 v3, v2 offset:132
.LBB23_26:
	s_or_b64 exec, exec, s[8:9]
	s_and_b32 s29, s10, 0xffff
	v_mov_b32_e32 v11, 0
	s_waitcnt lgkmcnt(0)
	s_barrier
	s_and_saveexec_b64 s[8:9], s[0:1]
	s_cbranch_execz .LBB23_30
; %bb.27:
	v_mov_b32_e32 v11, 0
	ds_read_b32 v2, v11 offset:132
	s_lshr_b32 s13, s14, 1
	s_mov_b64 s[10:11], 0
	v_mov_b32_e32 v12, s21
	v_mov_b32_e32 v13, v0
	s_waitcnt lgkmcnt(0)
	v_mov_b32_e32 v3, v2
.LBB23_28:                              ; =>This Inner Loop Header: Depth=1
	v_add_u32_e32 v14, s13, v13
	v_ashrrev_i32_e32 v15, 31, v14
	v_lshlrev_b64 v[14:15], 2, v[14:15]
	v_add_co_u32_e32 v14, vcc, s20, v14
	v_addc_co_u32_e32 v15, vcc, v12, v15, vcc
	global_load_dword v14, v[14:15], off
	v_add_u32_e32 v13, s29, v13
	v_cmp_le_i32_e32 vcc, s28, v13
	s_or_b64 s[10:11], vcc, s[10:11]
	s_waitcnt vmcnt(0)
	v_and_b32_e32 v15, 0xffff0000, v14
	v_lshlrev_b32_e32 v14, 16, v14
	v_pk_add_f32 v[14:15], v[14:15], v[2:3] neg_lo:[0,1] neg_hi:[0,1]
	v_pk_mul_f32 v[14:15], v[14:15], v[14:15]
	v_add_f32_e32 v11, v11, v14
	v_add_f32_e32 v11, v11, v15
	s_andn2_b64 exec, exec, s[10:11]
	s_cbranch_execnz .LBB23_28
; %bb.29:
	s_or_b64 exec, exec, s[10:11]
.LBB23_30:
	s_or_b64 exec, exec, s[8:9]
	ds_bpermute_b32 v2, v4, v11
	s_waitcnt lgkmcnt(0)
	v_add_f32_e32 v2, v11, v2
	ds_bpermute_b32 v3, v1, v2
	s_waitcnt lgkmcnt(0)
	v_add_f32_e32 v2, v2, v3
	;; [unrolled: 3-line block ×4, first 2 shown]
	ds_bpermute_b32 v3, v7, v2
	s_and_saveexec_b64 s[8:9], s[2:3]
	s_cbranch_execz .LBB23_32
; %bb.31:
	s_waitcnt lgkmcnt(0)
	v_add_f32_e32 v2, v2, v3
	ds_write_b32 v9, v2
.LBB23_32:
	s_or_b64 exec, exec, s[8:9]
	v_mov_b32_e32 v2, 0
	s_waitcnt lgkmcnt(0)
	s_barrier
	s_and_saveexec_b64 s[2:3], s[4:5]
	s_cbranch_execz .LBB23_34
; %bb.33:
	ds_read_b32 v2, v10
.LBB23_34:
	s_or_b64 exec, exec, s[2:3]
	s_waitcnt lgkmcnt(0)
	ds_bpermute_b32 v3, v4, v2
	s_waitcnt lgkmcnt(0)
	v_add_f32_e32 v2, v2, v3
	ds_bpermute_b32 v1, v1, v2
	s_waitcnt lgkmcnt(0)
	v_add_f32_e32 v1, v2, v1
	;; [unrolled: 3-line block ×4, first 2 shown]
	ds_bpermute_b32 v2, v7, v1
	s_and_saveexec_b64 s[2:3], s[6:7]
	s_cbranch_execz .LBB23_36
; %bb.35:
	s_waitcnt lgkmcnt(0)
	v_add_f32_e32 v1, v1, v2
	v_div_scale_f32 v2, s[4:5], v8, v8, v1
	v_rcp_f32_e32 v3, v2
	v_div_scale_f32 v4, vcc, v1, v8, v1
	s_mov_b32 s4, 0x800000
	v_fma_f32 v5, -v2, v3, 1.0
	v_fmac_f32_e32 v3, v5, v3
	v_mul_f32_e32 v5, v4, v3
	v_fma_f32 v6, -v2, v5, v4
	v_fmac_f32_e32 v5, v6, v3
	v_fma_f32 v2, -v2, v5, v4
	v_div_fmas_f32 v2, v2, v3, v5
	v_div_fixup_f32 v1, v2, v8, v1
	v_add_f32_e32 v1, s12, v1
	v_mul_f32_e32 v2, 0x4b800000, v1
	v_cmp_gt_f32_e32 vcc, s4, v1
	v_cndmask_b32_e32 v1, v1, v2, vcc
	v_rsq_f32_e32 v1, v1
	v_mul_f32_e32 v2, 0x45800000, v1
	v_cndmask_b32_e32 v1, v1, v2, vcc
	v_mov_b32_e32 v2, 0
	ds_write_b32 v2, v1 offset:128
.LBB23_36:
	s_or_b64 exec, exec, s[2:3]
	s_waitcnt lgkmcnt(0)
	s_barrier
	s_and_saveexec_b64 s[2:3], s[0:1]
	s_cbranch_execz .LBB23_54
; %bb.37:
	v_cvt_f32_u32_e32 v1, s29
	v_add_u32_e32 v2, s29, v0
	v_mov_b32_e32 v4, s29
	v_cmp_gt_i32_e64 s[0:1], s28, v2
	v_rcp_iflag_f32_e32 v1, v1
	s_sub_i32 s2, 0, s29
	v_max_i32_e32 v5, s28, v2
	v_addc_co_u32_e64 v2, vcc, v0, v4, s[0:1]
	v_mul_f32_e32 v1, 0x4f7ffffe, v1
	v_cvt_u32_f32_e32 v1, v1
	v_sub_u32_e32 v2, v5, v2
	v_mov_b32_e32 v3, 0
	ds_read_b64 v[6:7], v3 offset:128
	v_mul_lo_u32 v4, s2, v1
	v_mul_hi_u32 v4, v1, v4
	v_add_u32_e32 v1, v1, v4
	v_mul_hi_u32 v1, v2, v1
	v_mul_lo_u32 v4, v1, s29
	v_sub_u32_e32 v2, v2, v4
	v_add_u32_e32 v4, 1, v1
	v_cmp_le_u32_e32 vcc, s29, v2
	v_cndmask_b32_e32 v1, v1, v4, vcc
	v_subrev_u32_e32 v4, s29, v2
	v_cndmask_b32_e32 v2, v2, v4, vcc
	v_add_u32_e32 v4, 1, v1
	v_cmp_le_u32_e32 vcc, s29, v2
	v_cndmask_b32_e32 v1, v1, v4, vcc
	v_addc_co_u32_e64 v22, vcc, 1, v1, s[0:1]
	s_lshr_b32 s30, s14, 1
	v_cmp_gt_u32_e32 vcc, 16, v22
	v_cmp_lt_u32_e64 s[2:3], 15, v22
	s_and_saveexec_b64 s[22:23], s[2:3]
	s_cbranch_execz .LBB23_43
; %bb.38:
	v_addc_co_u32_e64 v2, s[0:1], 0, v1, s[0:1]
	v_add_u32_e32 v4, s30, v0
	v_add_u32_e32 v1, v4, v2
	v_ashrrev_i32_e32 v5, 31, v4
	v_cmp_ge_i32_e64 s[0:1], v1, v4
	v_lshlrev_b64 v[4:5], 2, v[4:5]
	v_mov_b32_e32 v1, s21
	v_add_co_u32_e64 v4, s[2:3], s20, v4
	v_addc_co_u32_e64 v5, s[2:3], v1, v5, s[2:3]
	v_add_co_u32_e64 v8, s[2:3], 2, v4
	v_addc_co_u32_e64 v9, s[2:3], 0, v5, s[2:3]
	v_lshlrev_b64 v[2:3], 2, v[2:3]
	v_add_co_u32_e64 v2, s[2:3], v4, v2
	v_addc_co_u32_e64 v3, s[2:3], v5, v3, s[2:3]
	s_cmp_eq_u32 s29, 1
	v_add_co_u32_e64 v10, s[2:3], 2, v2
	s_cselect_b64 s[6:7], -1, 0
	v_addc_co_u32_e64 v11, s[2:3], 0, v3, s[2:3]
	v_cmp_ge_u64_e64 s[2:3], v[10:11], v[8:9]
	s_and_b64 s[0:1], s[6:7], s[0:1]
	v_cmp_ge_u64_e64 s[4:5], v[2:3], v[4:5]
	s_and_b64 s[0:1], s[0:1], s[2:3]
	s_and_b64 s[2:3], s[0:1], s[4:5]
	s_mov_b64 s[0:1], -1
	s_and_saveexec_b64 s[24:25], s[2:3]
	s_cbranch_execz .LBB23_42
; %bb.39:
	v_add_u32_e32 v3, 3, v0
	v_add_u32_e32 v2, 2, v0
	v_and_b32_e32 v23, -4, v22
	v_add_u32_e32 v1, 1, v0
	v_pk_mov_b32 v[4:5], v[2:3], v[2:3] op_sel:[0,1]
	s_mov_b32 s31, s30
	s_mov_b32 s33, s30
	;; [unrolled: 1-line block ×3, first 2 shown]
	s_waitcnt lgkmcnt(0)
	v_mov_b32_e32 v8, v6
	v_mov_b32_e32 v9, v6
	s_mov_b64 s[26:27], 0
	v_mov_b32_e32 v24, s21
	v_mov_b32_e32 v25, s17
	;; [unrolled: 1-line block ×5, first 2 shown]
	s_mov_b32 s35, 0x7f800000
	s_movk_i32 s36, 0x7fff
	s_mov_b32 s37, 0x7060302
	v_mov_b32_e32 v13, 0
	v_mov_b32_e32 v27, v23
	v_pk_mov_b32 v[2:3], v[0:1], v[0:1] op_sel:[0,1]
.LBB23_40:                              ; =>This Inner Loop Header: Depth=1
	v_add_u32_e32 v14, s30, v2
	v_add_u32_e32 v27, -4, v27
	v_ashrrev_i32_e32 v15, 31, v14
	v_add_u32_e32 v16, s31, v3
	v_cmp_eq_u32_e64 s[0:1], 0, v27
	v_lshlrev_b64 v[14:15], 2, v[14:15]
	v_ashrrev_i32_e32 v17, 31, v16
	s_or_b64 s[26:27], s[0:1], s[26:27]
	v_add_co_u32_e64 v14, s[0:1], s20, v14
	v_add_u32_e32 v18, s33, v4
	v_lshlrev_b64 v[16:17], 2, v[16:17]
	v_addc_co_u32_e64 v15, s[0:1], v24, v15, s[0:1]
	v_ashrrev_i32_e32 v19, 31, v18
	v_add_co_u32_e64 v16, s[0:1], s20, v16
	v_add_u32_e32 v20, s34, v5
	v_lshlrev_b64 v[18:19], 2, v[18:19]
	v_addc_co_u32_e64 v17, s[0:1], v24, v17, s[0:1]
	v_ashrrev_i32_e32 v21, 31, v20
	v_add_co_u32_e64 v18, s[0:1], s20, v18
	v_mov_b32_e32 v12, v2
	v_lshlrev_b64 v[20:21], 2, v[20:21]
	v_addc_co_u32_e64 v19, s[0:1], v24, v19, s[0:1]
	v_lshlrev_b64 v[28:29], 2, v[12:13]
	v_mov_b32_e32 v12, v3
	v_add_co_u32_e64 v20, s[0:1], s20, v20
	v_lshlrev_b64 v[32:33], 2, v[12:13]
	v_addc_co_u32_e64 v21, s[0:1], v24, v21, s[0:1]
	v_add_co_u32_e64 v30, s[2:3], s16, v28
	v_add_co_u32_e64 v34, s[0:1], s16, v32
	v_addc_co_u32_e64 v31, s[2:3], v25, v29, s[2:3]
	v_addc_co_u32_e64 v35, s[0:1], v25, v33, s[0:1]
	v_mov_b32_e32 v12, v4
	v_add_co_u32_e64 v28, s[2:3], s18, v28
	global_load_dword v1, v[30:31], off
	v_add_co_u32_e64 v30, s[0:1], s18, v32
	v_addc_co_u32_e64 v29, s[2:3], v26, v29, s[2:3]
	v_lshlrev_b64 v[36:37], 2, v[12:13]
	v_addc_co_u32_e64 v31, s[0:1], v26, v33, s[0:1]
	global_load_dword v38, v[28:29], off
	v_add_co_u32_e64 v28, s[0:1], s16, v36
	v_mov_b32_e32 v12, v5
	v_addc_co_u32_e64 v29, s[0:1], v25, v37, s[0:1]
	global_load_dword v39, v[14:15], off
	global_load_dword v40, v[16:17], off
	;; [unrolled: 1-line block ×4, first 2 shown]
	v_lshlrev_b64 v[32:33], 2, v[12:13]
	global_load_dword v12, v[34:35], off
	global_load_dword v43, v[30:31], off
	v_add_co_u32_e64 v30, s[0:1], s18, v36
	v_addc_co_u32_e64 v31, s[0:1], v26, v37, s[0:1]
	global_load_dword v37, v[28:29], off
	global_load_dword v44, v[30:31], off
	v_add_co_u32_e64 v28, s[0:1], s16, v32
	v_addc_co_u32_e64 v29, s[0:1], v25, v33, s[0:1]
	v_add_co_u32_e64 v30, s[0:1], s18, v32
	v_addc_co_u32_e64 v31, s[0:1], v26, v33, s[0:1]
	global_load_dword v52, v[28:29], off
	global_load_dword v53, v[30:31], off
	v_add_u32_e32 v2, 4, v2
	v_add_u32_e32 v3, 4, v3
	;; [unrolled: 1-line block ×4, first 2 shown]
	s_waitcnt vmcnt(11)
	v_lshlrev_b32_e32 v28, 16, v1
	v_and_b32_e32 v30, 0xffff0000, v1
	s_waitcnt vmcnt(10)
	v_lshlrev_b32_e32 v32, 16, v38
	v_and_b32_e32 v34, 0xffff0000, v38
	s_waitcnt vmcnt(9)
	v_lshlrev_b32_e32 v47, 16, v39
	s_waitcnt vmcnt(8)
	v_lshlrev_b32_e32 v45, 16, v40
	;; [unrolled: 2-line block ×4, first 2 shown]
	v_and_b32_e32 v39, 0xffff0000, v39
	v_and_b32_e32 v48, 0xffff0000, v40
	;; [unrolled: 1-line block ×4, first 2 shown]
	v_sub_f32_e32 v45, v45, v7
	v_sub_f32_e32 v49, v48, v7
	s_waitcnt vmcnt(2)
	v_lshlrev_b32_e32 v40, 16, v44
	v_and_b32_e32 v42, 0xffff0000, v44
	v_sub_f32_e32 v44, v47, v7
	v_sub_f32_e32 v47, v46, v7
	;; [unrolled: 1-line block ×4, first 2 shown]
	v_lshlrev_b32_e32 v29, 16, v12
	v_and_b32_e32 v31, 0xffff0000, v12
	v_lshlrev_b32_e32 v33, 16, v43
	v_and_b32_e32 v35, 0xffff0000, v43
	;; [unrolled: 2-line block ×3, first 2 shown]
	v_sub_f32_e32 v51, v50, v7
	v_sub_f32_e32 v50, v41, v7
	s_waitcnt vmcnt(1)
	v_lshlrev_b32_e32 v37, 16, v52
	s_waitcnt vmcnt(0)
	v_lshlrev_b32_e32 v41, 16, v53
	v_pk_mul_f32 v[46:47], v[46:47], v[10:11]
	v_pk_mul_f32 v[44:45], v[44:45], v[8:9]
	;; [unrolled: 1-line block ×3, first 2 shown]
	v_and_b32_e32 v39, 0xffff0000, v52
	v_and_b32_e32 v43, 0xffff0000, v53
	v_pk_mul_f32 v[50:51], v[50:51], v[10:11]
	v_pk_fma_f32 v[28:29], v[44:45], v[28:29], v[32:33]
	v_pk_fma_f32 v[32:33], v[46:47], v[36:37], v[40:41]
	;; [unrolled: 1-line block ×4, first 2 shown]
	v_and_b32_e32 v12, 0x7f800000, v32
	v_and_b32_e32 v36, 0x7f800000, v29
	;; [unrolled: 1-line block ×3, first 2 shown]
	v_bfe_u32 v38, v33, 16, 1
	v_bfe_u32 v39, v32, 16, 1
	;; [unrolled: 1-line block ×4, first 2 shown]
	v_or_b32_e32 v42, 0x10000, v33
	v_cmp_eq_u32_sdwa s[0:1], v33, v13 src0_sel:WORD_0 src1_sel:DWORD
	v_or_b32_e32 v43, 0x10000, v32
	v_cmp_eq_u32_sdwa s[2:3], v32, v13 src0_sel:WORD_0 src1_sel:DWORD
	;; [unrolled: 2-line block ×3, first 2 shown]
	v_or_b32_e32 v45, 0x10000, v28
	v_and_b32_e32 v49, 0x7f800000, v30
	v_bfe_u32 v53, v30, 16, 1
	v_or_b32_e32 v57, 0x10000, v30
	v_cmp_eq_u32_sdwa s[12:13], v30, v13 src0_sel:WORD_0 src1_sel:DWORD
	v_cmp_eq_u32_sdwa s[14:15], v28, v13 src0_sel:WORD_0 src1_sel:DWORD
	v_and_b32_e32 v1, 0x7f800000, v33
	v_and_b32_e32 v46, 0x7f800000, v35
	;; [unrolled: 1-line block ×4, first 2 shown]
	v_bfe_u32 v50, v35, 16, 1
	v_bfe_u32 v51, v34, 16, 1
	;; [unrolled: 1-line block ×3, first 2 shown]
	v_or_b32_e32 v54, 0x10000, v35
	v_cmp_eq_u32_sdwa s[6:7], v35, v13 src0_sel:WORD_0 src1_sel:DWORD
	v_or_b32_e32 v55, 0x10000, v34
	v_cmp_eq_u32_sdwa s[8:9], v34, v13 src0_sel:WORD_0 src1_sel:DWORD
	;; [unrolled: 2-line block ×3, first 2 shown]
	v_add3_u32 v41, v28, v41, s36
	v_cndmask_b32_e64 v28, v45, v28, s[14:15]
	v_cmp_eq_u32_e64 s[14:15], s35, v37
	v_add3_u32 v37, v29, v40, s36
	v_cndmask_b32_e64 v29, v44, v29, s[4:5]
	v_cmp_eq_u32_e64 s[4:5], s35, v36
	;; [unrolled: 3-line block ×3, first 2 shown]
	v_add3_u32 v12, v33, v38, s36
	v_cndmask_b32_e64 v33, v42, v33, s[0:1]
	v_add3_u32 v38, v30, v53, s36
	v_cndmask_b32_e64 v30, v57, v30, s[12:13]
	v_cmp_eq_u32_e64 s[0:1], s35, v49
	v_add3_u32 v39, v31, v52, s36
	v_cndmask_b32_e64 v31, v56, v31, s[10:11]
	v_cmp_eq_u32_e64 s[10:11], s35, v48
	;; [unrolled: 3-line block ×4, first 2 shown]
	v_cmp_eq_u32_e64 s[12:13], s35, v1
	v_cndmask_b32_e64 v28, v41, v28, s[14:15]
	v_cndmask_b32_e64 v30, v38, v30, s[0:1]
	;; [unrolled: 1-line block ×8, first 2 shown]
	v_perm_b32 v28, v30, v28, s37
	v_perm_b32 v29, v31, v29, s37
	;; [unrolled: 1-line block ×4, first 2 shown]
	global_store_dword v[14:15], v28, off
	global_store_dword v[16:17], v29, off
	;; [unrolled: 1-line block ×4, first 2 shown]
	s_andn2_b64 exec, exec, s[26:27]
	s_cbranch_execnz .LBB23_40
; %bb.41:
	s_or_b64 exec, exec, s[26:27]
	v_cmp_ne_u32_e64 s[0:1], v22, v23
	v_add_u32_e32 v0, v0, v23
	s_orn2_b64 s[0:1], s[0:1], exec
.LBB23_42:
	s_or_b64 exec, exec, s[24:25]
	s_andn2_b64 s[2:3], vcc, exec
	s_and_b64 s[0:1], s[0:1], exec
	s_or_b64 vcc, s[2:3], s[0:1]
.LBB23_43:
	s_or_b64 exec, exec, s[22:23]
	s_and_b64 exec, exec, vcc
	s_cbranch_execz .LBB23_54
; %bb.44:
	v_mov_b32_e32 v1, 0
	s_mov_b32 s2, 0
	v_lshlrev_b64 v[2:3], 2, v[0:1]
	v_or_b32_e32 v2, 2, v2
	s_lshl_b32 s4, s29, 2
	s_mov_b64 s[0:1], 0
	v_mov_b32_e32 v8, s21
	v_mov_b32_e32 v9, s17
	;; [unrolled: 1-line block ×3, first 2 shown]
	s_mov_b32 s5, 0x7f800000
	s_movk_i32 s6, 0x7fff
	s_mov_b32 s7, 0x7060302
	v_mov_b32_e32 v11, s2
	s_branch .LBB23_46
.LBB23_45:                              ;   in Loop: Header=BB23_46 Depth=1
	s_or_b64 exec, exec, s[2:3]
	v_add_u32_e32 v0, s29, v0
	v_cmp_le_i32_e32 vcc, s28, v0
	s_or_b64 s[0:1], vcc, s[0:1]
	v_add_co_u32_e32 v2, vcc, s4, v2
	v_perm_b32 v12, v14, v12, s7
	v_addc_co_u32_e32 v3, vcc, v3, v11, vcc
	global_store_dword v[4:5], v12, off
	s_andn2_b64 exec, exec, s[0:1]
	s_cbranch_execz .LBB23_54
.LBB23_46:                              ; =>This Inner Loop Header: Depth=1
	v_add_u32_e32 v4, s30, v0
	v_ashrrev_i32_e32 v5, 31, v4
	v_lshlrev_b64 v[4:5], 2, v[4:5]
	v_add_co_u32_e32 v4, vcc, s20, v4
	v_addc_co_u32_e32 v5, vcc, v8, v5, vcc
	v_add_co_u32_e32 v14, vcc, s16, v2
	v_addc_co_u32_e32 v15, vcc, v9, v3, vcc
	global_load_dword v13, v[4:5], off
	v_add_co_u32_e32 v16, vcc, s18, v2
	v_addc_co_u32_e32 v17, vcc, v10, v3, vcc
	global_load_dword v14, v[14:15], off offset:-2
	s_waitcnt vmcnt(0)
	v_lshlrev_b32_e32 v12, 16, v14
	global_load_dword v15, v[16:17], off offset:-2
	v_lshlrev_b32_e32 v17, 16, v13
	s_waitcnt lgkmcnt(0)
	v_sub_f32_e32 v17, v17, v7
	v_mul_f32_e32 v17, v17, v6
	s_waitcnt vmcnt(0)
	v_lshlrev_b32_e32 v16, 16, v15
	v_fmac_f32_e32 v16, v17, v12
	v_and_b32_e32 v12, 0x7f800000, v16
	v_cmp_ne_u32_e32 vcc, s5, v12
                                        ; implicit-def: $vgpr12
	s_and_saveexec_b64 s[2:3], vcc
	s_xor_b64 s[2:3], exec, s[2:3]
; %bb.47:                               ;   in Loop: Header=BB23_46 Depth=1
	v_bfe_u32 v12, v16, 16, 1
	v_add3_u32 v12, v16, v12, s6
                                        ; implicit-def: $vgpr16
; %bb.48:                               ;   in Loop: Header=BB23_46 Depth=1
	s_andn2_saveexec_b64 s[2:3], s[2:3]
; %bb.49:                               ;   in Loop: Header=BB23_46 Depth=1
	v_or_b32_e32 v12, 0x10000, v16
	v_cmp_eq_u32_sdwa vcc, v16, v1 src0_sel:WORD_0 src1_sel:DWORD
	v_cndmask_b32_e32 v12, v12, v16, vcc
; %bb.50:                               ;   in Loop: Header=BB23_46 Depth=1
	s_or_b64 exec, exec, s[2:3]
	v_and_b32_e32 v16, 0xffff0000, v13
	v_and_b32_e32 v13, 0xffff0000, v15
	v_sub_f32_e32 v15, v16, v7
	v_and_b32_e32 v14, 0xffff0000, v14
	v_mul_f32_e32 v15, v15, v6
	v_fmac_f32_e32 v13, v15, v14
	v_and_b32_e32 v14, 0x7f800000, v13
	v_cmp_ne_u32_e32 vcc, s5, v14
                                        ; implicit-def: $vgpr14
	s_and_saveexec_b64 s[2:3], vcc
	s_xor_b64 s[2:3], exec, s[2:3]
; %bb.51:                               ;   in Loop: Header=BB23_46 Depth=1
	v_bfe_u32 v14, v13, 16, 1
	v_add3_u32 v14, v13, v14, s6
                                        ; implicit-def: $vgpr13
; %bb.52:                               ;   in Loop: Header=BB23_46 Depth=1
	s_andn2_saveexec_b64 s[2:3], s[2:3]
	s_cbranch_execz .LBB23_45
; %bb.53:                               ;   in Loop: Header=BB23_46 Depth=1
	v_or_b32_e32 v14, 0x10000, v13
	v_cmp_eq_u32_sdwa vcc, v13, v1 src0_sel:WORD_0 src1_sel:DWORD
	v_cndmask_b32_e32 v14, v14, v13, vcc
	s_branch .LBB23_45
.LBB23_54:
	s_endpgm
	.section	.rodata,"a",@progbits
	.p2align	6, 0x0
	.amdhsa_kernel _Z35generalAddBiasResidualPostLayerNormI14__hip_bfloat16Li32EEvPT_PKS1_S4_S4_S4_fi
		.amdhsa_group_segment_fixed_size 136
		.amdhsa_private_segment_fixed_size 0
		.amdhsa_kernarg_size 304
		.amdhsa_user_sgpr_count 6
		.amdhsa_user_sgpr_private_segment_buffer 1
		.amdhsa_user_sgpr_dispatch_ptr 0
		.amdhsa_user_sgpr_queue_ptr 0
		.amdhsa_user_sgpr_kernarg_segment_ptr 1
		.amdhsa_user_sgpr_dispatch_id 0
		.amdhsa_user_sgpr_flat_scratch_init 0
		.amdhsa_user_sgpr_kernarg_preload_length 0
		.amdhsa_user_sgpr_kernarg_preload_offset 0
		.amdhsa_user_sgpr_private_segment_size 0
		.amdhsa_uses_dynamic_stack 0
		.amdhsa_system_sgpr_private_segment_wavefront_offset 0
		.amdhsa_system_sgpr_workgroup_id_x 1
		.amdhsa_system_sgpr_workgroup_id_y 0
		.amdhsa_system_sgpr_workgroup_id_z 0
		.amdhsa_system_sgpr_workgroup_info 0
		.amdhsa_system_vgpr_workitem_id 0
		.amdhsa_next_free_vgpr 58
		.amdhsa_next_free_sgpr 38
		.amdhsa_accum_offset 60
		.amdhsa_reserve_vcc 1
		.amdhsa_reserve_flat_scratch 0
		.amdhsa_float_round_mode_32 0
		.amdhsa_float_round_mode_16_64 0
		.amdhsa_float_denorm_mode_32 3
		.amdhsa_float_denorm_mode_16_64 3
		.amdhsa_dx10_clamp 1
		.amdhsa_ieee_mode 1
		.amdhsa_fp16_overflow 0
		.amdhsa_tg_split 0
		.amdhsa_exception_fp_ieee_invalid_op 0
		.amdhsa_exception_fp_denorm_src 0
		.amdhsa_exception_fp_ieee_div_zero 0
		.amdhsa_exception_fp_ieee_overflow 0
		.amdhsa_exception_fp_ieee_underflow 0
		.amdhsa_exception_fp_ieee_inexact 0
		.amdhsa_exception_int_div_zero 0
	.end_amdhsa_kernel
	.section	.text._Z35generalAddBiasResidualPostLayerNormI14__hip_bfloat16Li32EEvPT_PKS1_S4_S4_S4_fi,"axG",@progbits,_Z35generalAddBiasResidualPostLayerNormI14__hip_bfloat16Li32EEvPT_PKS1_S4_S4_S4_fi,comdat
.Lfunc_end23:
	.size	_Z35generalAddBiasResidualPostLayerNormI14__hip_bfloat16Li32EEvPT_PKS1_S4_S4_S4_fi, .Lfunc_end23-_Z35generalAddBiasResidualPostLayerNormI14__hip_bfloat16Li32EEvPT_PKS1_S4_S4_S4_fi
                                        ; -- End function
	.section	.AMDGPU.csdata,"",@progbits
; Kernel info:
; codeLenInByte = 3848
; NumSgprs: 42
; NumVgprs: 58
; NumAgprs: 0
; TotalNumVgprs: 58
; ScratchSize: 0
; MemoryBound: 0
; FloatMode: 240
; IeeeMode: 1
; LDSByteSize: 136 bytes/workgroup (compile time only)
; SGPRBlocks: 5
; VGPRBlocks: 7
; NumSGPRsForWavesPerEU: 42
; NumVGPRsForWavesPerEU: 58
; AccumOffset: 60
; Occupancy: 8
; WaveLimiterHint : 0
; COMPUTE_PGM_RSRC2:SCRATCH_EN: 0
; COMPUTE_PGM_RSRC2:USER_SGPR: 6
; COMPUTE_PGM_RSRC2:TRAP_HANDLER: 0
; COMPUTE_PGM_RSRC2:TGID_X_EN: 1
; COMPUTE_PGM_RSRC2:TGID_Y_EN: 0
; COMPUTE_PGM_RSRC2:TGID_Z_EN: 0
; COMPUTE_PGM_RSRC2:TIDIG_COMP_CNT: 0
; COMPUTE_PGM_RSRC3_GFX90A:ACCUM_OFFSET: 14
; COMPUTE_PGM_RSRC3_GFX90A:TG_SPLIT: 0
	.text
	.p2alignl 6, 3212836864
	.fill 256, 4, 3212836864
	.type	__hip_cuid_f640ea2aacbb0cc1,@object ; @__hip_cuid_f640ea2aacbb0cc1
	.section	.bss,"aw",@nobits
	.globl	__hip_cuid_f640ea2aacbb0cc1
__hip_cuid_f640ea2aacbb0cc1:
	.byte	0                               ; 0x0
	.size	__hip_cuid_f640ea2aacbb0cc1, 1

	.ident	"AMD clang version 19.0.0git (https://github.com/RadeonOpenCompute/llvm-project roc-6.4.0 25133 c7fe45cf4b819c5991fe208aaa96edf142730f1d)"
	.section	".note.GNU-stack","",@progbits
	.addrsig
	.addrsig_sym __hip_cuid_f640ea2aacbb0cc1
	.amdgpu_metadata
---
amdhsa.kernels:
  - .agpr_count:     0
    .args:
      - .address_space:  global
        .offset:         0
        .size:           8
        .value_kind:     global_buffer
      - .actual_access:  read_only
        .address_space:  global
        .offset:         8
        .size:           8
        .value_kind:     global_buffer
      - .actual_access:  read_only
        .address_space:  global
        .offset:         16
        .size:           8
        .value_kind:     global_buffer
      - .actual_access:  read_only
        .address_space:  global
        .offset:         24
        .size:           8
        .value_kind:     global_buffer
      - .actual_access:  read_only
        .address_space:  global
        .offset:         32
        .size:           8
        .value_kind:     global_buffer
      - .offset:         40
        .size:           4
        .value_kind:     by_value
      - .offset:         44
        .size:           4
        .value_kind:     by_value
      - .offset:         48
        .size:           4
        .value_kind:     hidden_block_count_x
      - .offset:         52
        .size:           4
        .value_kind:     hidden_block_count_y
      - .offset:         56
        .size:           4
        .value_kind:     hidden_block_count_z
      - .offset:         60
        .size:           2
        .value_kind:     hidden_group_size_x
      - .offset:         62
        .size:           2
        .value_kind:     hidden_group_size_y
      - .offset:         64
        .size:           2
        .value_kind:     hidden_group_size_z
      - .offset:         66
        .size:           2
        .value_kind:     hidden_remainder_x
      - .offset:         68
        .size:           2
        .value_kind:     hidden_remainder_y
      - .offset:         70
        .size:           2
        .value_kind:     hidden_remainder_z
      - .offset:         88
        .size:           8
        .value_kind:     hidden_global_offset_x
      - .offset:         96
        .size:           8
        .value_kind:     hidden_global_offset_y
      - .offset:         104
        .size:           8
        .value_kind:     hidden_global_offset_z
      - .offset:         112
        .size:           2
        .value_kind:     hidden_grid_dims
    .group_segment_fixed_size: 72
    .kernarg_segment_align: 8
    .kernarg_segment_size: 304
    .language:       OpenCL C
    .language_version:
      - 2
      - 0
    .max_flat_workgroup_size: 1024
    .name:           _Z30addBiasResidualPostLayerNormV2IfLi64EEvPT_PKS0_S3_S3_S3_fi
    .private_segment_fixed_size: 0
    .sgpr_count:     23
    .sgpr_spill_count: 0
    .symbol:         _Z30addBiasResidualPostLayerNormV2IfLi64EEvPT_PKS0_S3_S3_S3_fi.kd
    .uniform_work_group_size: 1
    .uses_dynamic_stack: false
    .vgpr_count:     34
    .vgpr_spill_count: 0
    .wavefront_size: 64
  - .agpr_count:     0
    .args:
      - .address_space:  global
        .offset:         0
        .size:           8
        .value_kind:     global_buffer
      - .actual_access:  read_only
        .address_space:  global
        .offset:         8
        .size:           8
        .value_kind:     global_buffer
      - .actual_access:  read_only
        .address_space:  global
        .offset:         16
        .size:           8
        .value_kind:     global_buffer
      - .actual_access:  read_only
        .address_space:  global
        .offset:         24
        .size:           8
        .value_kind:     global_buffer
      - .actual_access:  read_only
        .address_space:  global
        .offset:         32
        .size:           8
        .value_kind:     global_buffer
      - .offset:         40
        .size:           4
        .value_kind:     by_value
      - .offset:         44
        .size:           4
        .value_kind:     by_value
      - .offset:         48
        .size:           4
        .value_kind:     hidden_block_count_x
      - .offset:         52
        .size:           4
        .value_kind:     hidden_block_count_y
      - .offset:         56
        .size:           4
        .value_kind:     hidden_block_count_z
      - .offset:         60
        .size:           2
        .value_kind:     hidden_group_size_x
      - .offset:         62
        .size:           2
        .value_kind:     hidden_group_size_y
      - .offset:         64
        .size:           2
        .value_kind:     hidden_group_size_z
      - .offset:         66
        .size:           2
        .value_kind:     hidden_remainder_x
      - .offset:         68
        .size:           2
        .value_kind:     hidden_remainder_y
      - .offset:         70
        .size:           2
        .value_kind:     hidden_remainder_z
      - .offset:         88
        .size:           8
        .value_kind:     hidden_global_offset_x
      - .offset:         96
        .size:           8
        .value_kind:     hidden_global_offset_y
      - .offset:         104
        .size:           8
        .value_kind:     hidden_global_offset_z
      - .offset:         112
        .size:           2
        .value_kind:     hidden_grid_dims
    .group_segment_fixed_size: 136
    .kernarg_segment_align: 8
    .kernarg_segment_size: 304
    .language:       OpenCL C
    .language_version:
      - 2
      - 0
    .max_flat_workgroup_size: 1024
    .name:           _Z30addBiasResidualPostLayerNormV2IfLi32EEvPT_PKS0_S3_S3_S3_fi
    .private_segment_fixed_size: 0
    .sgpr_count:     23
    .sgpr_spill_count: 0
    .symbol:         _Z30addBiasResidualPostLayerNormV2IfLi32EEvPT_PKS0_S3_S3_S3_fi.kd
    .uniform_work_group_size: 1
    .uses_dynamic_stack: false
    .vgpr_count:     34
    .vgpr_spill_count: 0
    .wavefront_size: 64
  - .agpr_count:     0
    .args:
      - .address_space:  global
        .offset:         0
        .size:           8
        .value_kind:     global_buffer
      - .actual_access:  read_only
        .address_space:  global
        .offset:         8
        .size:           8
        .value_kind:     global_buffer
      - .actual_access:  read_only
        .address_space:  global
        .offset:         16
        .size:           8
        .value_kind:     global_buffer
      - .actual_access:  read_only
        .address_space:  global
        .offset:         24
        .size:           8
        .value_kind:     global_buffer
      - .actual_access:  read_only
        .address_space:  global
        .offset:         32
        .size:           8
        .value_kind:     global_buffer
      - .offset:         40
        .size:           4
        .value_kind:     by_value
      - .offset:         44
        .size:           4
        .value_kind:     by_value
      - .offset:         48
        .size:           4
        .value_kind:     hidden_block_count_x
      - .offset:         52
        .size:           4
        .value_kind:     hidden_block_count_y
      - .offset:         56
        .size:           4
        .value_kind:     hidden_block_count_z
      - .offset:         60
        .size:           2
        .value_kind:     hidden_group_size_x
      - .offset:         62
        .size:           2
        .value_kind:     hidden_group_size_y
      - .offset:         64
        .size:           2
        .value_kind:     hidden_group_size_z
      - .offset:         66
        .size:           2
        .value_kind:     hidden_remainder_x
      - .offset:         68
        .size:           2
        .value_kind:     hidden_remainder_y
      - .offset:         70
        .size:           2
        .value_kind:     hidden_remainder_z
      - .offset:         88
        .size:           8
        .value_kind:     hidden_global_offset_x
      - .offset:         96
        .size:           8
        .value_kind:     hidden_global_offset_y
      - .offset:         104
        .size:           8
        .value_kind:     hidden_global_offset_z
      - .offset:         112
        .size:           2
        .value_kind:     hidden_grid_dims
    .group_segment_fixed_size: 72
    .kernarg_segment_align: 8
    .kernarg_segment_size: 304
    .language:       OpenCL C
    .language_version:
      - 2
      - 0
    .max_flat_workgroup_size: 1024
    .name:           _Z28addBiasResidualPostLayerNormIfLi1ELi64EEvPT_PKS0_S3_S3_S3_fi
    .private_segment_fixed_size: 0
    .sgpr_count:     24
    .sgpr_spill_count: 0
    .symbol:         _Z28addBiasResidualPostLayerNormIfLi1ELi64EEvPT_PKS0_S3_S3_S3_fi.kd
    .uniform_work_group_size: 1
    .uses_dynamic_stack: false
    .vgpr_count:     18
    .vgpr_spill_count: 0
    .wavefront_size: 64
  - .agpr_count:     0
    .args:
      - .address_space:  global
        .offset:         0
        .size:           8
        .value_kind:     global_buffer
      - .actual_access:  read_only
        .address_space:  global
        .offset:         8
        .size:           8
        .value_kind:     global_buffer
      - .actual_access:  read_only
        .address_space:  global
        .offset:         16
        .size:           8
        .value_kind:     global_buffer
      - .actual_access:  read_only
        .address_space:  global
        .offset:         24
        .size:           8
        .value_kind:     global_buffer
      - .actual_access:  read_only
        .address_space:  global
        .offset:         32
        .size:           8
        .value_kind:     global_buffer
      - .offset:         40
        .size:           4
        .value_kind:     by_value
      - .offset:         44
        .size:           4
        .value_kind:     by_value
      - .offset:         48
        .size:           4
        .value_kind:     hidden_block_count_x
      - .offset:         52
        .size:           4
        .value_kind:     hidden_block_count_y
      - .offset:         56
        .size:           4
        .value_kind:     hidden_block_count_z
      - .offset:         60
        .size:           2
        .value_kind:     hidden_group_size_x
      - .offset:         62
        .size:           2
        .value_kind:     hidden_group_size_y
      - .offset:         64
        .size:           2
        .value_kind:     hidden_group_size_z
      - .offset:         66
        .size:           2
        .value_kind:     hidden_remainder_x
      - .offset:         68
        .size:           2
        .value_kind:     hidden_remainder_y
      - .offset:         70
        .size:           2
        .value_kind:     hidden_remainder_z
      - .offset:         88
        .size:           8
        .value_kind:     hidden_global_offset_x
      - .offset:         96
        .size:           8
        .value_kind:     hidden_global_offset_y
      - .offset:         104
        .size:           8
        .value_kind:     hidden_global_offset_z
      - .offset:         112
        .size:           2
        .value_kind:     hidden_grid_dims
    .group_segment_fixed_size: 72
    .kernarg_segment_align: 8
    .kernarg_segment_size: 304
    .language:       OpenCL C
    .language_version:
      - 2
      - 0
    .max_flat_workgroup_size: 1024
    .name:           _Z28addBiasResidualPostLayerNormIfLi2ELi64EEvPT_PKS0_S3_S3_S3_fi
    .private_segment_fixed_size: 0
    .sgpr_count:     24
    .sgpr_spill_count: 0
    .symbol:         _Z28addBiasResidualPostLayerNormIfLi2ELi64EEvPT_PKS0_S3_S3_S3_fi.kd
    .uniform_work_group_size: 1
    .uses_dynamic_stack: false
    .vgpr_count:     20
    .vgpr_spill_count: 0
    .wavefront_size: 64
  - .agpr_count:     0
    .args:
      - .address_space:  global
        .offset:         0
        .size:           8
        .value_kind:     global_buffer
      - .actual_access:  read_only
        .address_space:  global
        .offset:         8
        .size:           8
        .value_kind:     global_buffer
      - .actual_access:  read_only
        .address_space:  global
        .offset:         16
        .size:           8
        .value_kind:     global_buffer
      - .actual_access:  read_only
        .address_space:  global
        .offset:         24
        .size:           8
        .value_kind:     global_buffer
      - .actual_access:  read_only
        .address_space:  global
        .offset:         32
        .size:           8
        .value_kind:     global_buffer
      - .offset:         40
        .size:           4
        .value_kind:     by_value
      - .offset:         44
        .size:           4
        .value_kind:     by_value
      - .offset:         48
        .size:           4
        .value_kind:     hidden_block_count_x
      - .offset:         52
        .size:           4
        .value_kind:     hidden_block_count_y
      - .offset:         56
        .size:           4
        .value_kind:     hidden_block_count_z
      - .offset:         60
        .size:           2
        .value_kind:     hidden_group_size_x
      - .offset:         62
        .size:           2
        .value_kind:     hidden_group_size_y
      - .offset:         64
        .size:           2
        .value_kind:     hidden_group_size_z
      - .offset:         66
        .size:           2
        .value_kind:     hidden_remainder_x
      - .offset:         68
        .size:           2
        .value_kind:     hidden_remainder_y
      - .offset:         70
        .size:           2
        .value_kind:     hidden_remainder_z
      - .offset:         88
        .size:           8
        .value_kind:     hidden_global_offset_x
      - .offset:         96
        .size:           8
        .value_kind:     hidden_global_offset_y
      - .offset:         104
        .size:           8
        .value_kind:     hidden_global_offset_z
      - .offset:         112
        .size:           2
        .value_kind:     hidden_grid_dims
    .group_segment_fixed_size: 72
    .kernarg_segment_align: 8
    .kernarg_segment_size: 304
    .language:       OpenCL C
    .language_version:
      - 2
      - 0
    .max_flat_workgroup_size: 1024
    .name:           _Z35generalAddBiasResidualPostLayerNormIfLi64EEvPT_PKS0_S3_S3_S3_fi
    .private_segment_fixed_size: 0
    .sgpr_count:     29
    .sgpr_spill_count: 0
    .symbol:         _Z35generalAddBiasResidualPostLayerNormIfLi64EEvPT_PKS0_S3_S3_S3_fi.kd
    .uniform_work_group_size: 1
    .uses_dynamic_stack: false
    .vgpr_count:     40
    .vgpr_spill_count: 0
    .wavefront_size: 64
  - .agpr_count:     0
    .args:
      - .address_space:  global
        .offset:         0
        .size:           8
        .value_kind:     global_buffer
      - .actual_access:  read_only
        .address_space:  global
        .offset:         8
        .size:           8
        .value_kind:     global_buffer
      - .actual_access:  read_only
        .address_space:  global
        .offset:         16
        .size:           8
        .value_kind:     global_buffer
      - .actual_access:  read_only
        .address_space:  global
        .offset:         24
        .size:           8
        .value_kind:     global_buffer
      - .actual_access:  read_only
        .address_space:  global
        .offset:         32
        .size:           8
        .value_kind:     global_buffer
      - .offset:         40
        .size:           4
        .value_kind:     by_value
      - .offset:         44
        .size:           4
        .value_kind:     by_value
      - .offset:         48
        .size:           4
        .value_kind:     hidden_block_count_x
      - .offset:         52
        .size:           4
        .value_kind:     hidden_block_count_y
      - .offset:         56
        .size:           4
        .value_kind:     hidden_block_count_z
      - .offset:         60
        .size:           2
        .value_kind:     hidden_group_size_x
      - .offset:         62
        .size:           2
        .value_kind:     hidden_group_size_y
      - .offset:         64
        .size:           2
        .value_kind:     hidden_group_size_z
      - .offset:         66
        .size:           2
        .value_kind:     hidden_remainder_x
      - .offset:         68
        .size:           2
        .value_kind:     hidden_remainder_y
      - .offset:         70
        .size:           2
        .value_kind:     hidden_remainder_z
      - .offset:         88
        .size:           8
        .value_kind:     hidden_global_offset_x
      - .offset:         96
        .size:           8
        .value_kind:     hidden_global_offset_y
      - .offset:         104
        .size:           8
        .value_kind:     hidden_global_offset_z
      - .offset:         112
        .size:           2
        .value_kind:     hidden_grid_dims
    .group_segment_fixed_size: 136
    .kernarg_segment_align: 8
    .kernarg_segment_size: 304
    .language:       OpenCL C
    .language_version:
      - 2
      - 0
    .max_flat_workgroup_size: 1024
    .name:           _Z28addBiasResidualPostLayerNormIfLi1ELi32EEvPT_PKS0_S3_S3_S3_fi
    .private_segment_fixed_size: 0
    .sgpr_count:     24
    .sgpr_spill_count: 0
    .symbol:         _Z28addBiasResidualPostLayerNormIfLi1ELi32EEvPT_PKS0_S3_S3_S3_fi.kd
    .uniform_work_group_size: 1
    .uses_dynamic_stack: false
    .vgpr_count:     17
    .vgpr_spill_count: 0
    .wavefront_size: 64
  - .agpr_count:     0
    .args:
      - .address_space:  global
        .offset:         0
        .size:           8
        .value_kind:     global_buffer
      - .actual_access:  read_only
        .address_space:  global
        .offset:         8
        .size:           8
        .value_kind:     global_buffer
      - .actual_access:  read_only
        .address_space:  global
        .offset:         16
        .size:           8
        .value_kind:     global_buffer
      - .actual_access:  read_only
        .address_space:  global
        .offset:         24
        .size:           8
        .value_kind:     global_buffer
      - .actual_access:  read_only
        .address_space:  global
        .offset:         32
        .size:           8
        .value_kind:     global_buffer
      - .offset:         40
        .size:           4
        .value_kind:     by_value
      - .offset:         44
        .size:           4
        .value_kind:     by_value
      - .offset:         48
        .size:           4
        .value_kind:     hidden_block_count_x
      - .offset:         52
        .size:           4
        .value_kind:     hidden_block_count_y
      - .offset:         56
        .size:           4
        .value_kind:     hidden_block_count_z
      - .offset:         60
        .size:           2
        .value_kind:     hidden_group_size_x
      - .offset:         62
        .size:           2
        .value_kind:     hidden_group_size_y
      - .offset:         64
        .size:           2
        .value_kind:     hidden_group_size_z
      - .offset:         66
        .size:           2
        .value_kind:     hidden_remainder_x
      - .offset:         68
        .size:           2
        .value_kind:     hidden_remainder_y
      - .offset:         70
        .size:           2
        .value_kind:     hidden_remainder_z
      - .offset:         88
        .size:           8
        .value_kind:     hidden_global_offset_x
      - .offset:         96
        .size:           8
        .value_kind:     hidden_global_offset_y
      - .offset:         104
        .size:           8
        .value_kind:     hidden_global_offset_z
      - .offset:         112
        .size:           2
        .value_kind:     hidden_grid_dims
    .group_segment_fixed_size: 136
    .kernarg_segment_align: 8
    .kernarg_segment_size: 304
    .language:       OpenCL C
    .language_version:
      - 2
      - 0
    .max_flat_workgroup_size: 1024
    .name:           _Z28addBiasResidualPostLayerNormIfLi2ELi32EEvPT_PKS0_S3_S3_S3_fi
    .private_segment_fixed_size: 0
    .sgpr_count:     24
    .sgpr_spill_count: 0
    .symbol:         _Z28addBiasResidualPostLayerNormIfLi2ELi32EEvPT_PKS0_S3_S3_S3_fi.kd
    .uniform_work_group_size: 1
    .uses_dynamic_stack: false
    .vgpr_count:     19
    .vgpr_spill_count: 0
    .wavefront_size: 64
  - .agpr_count:     0
    .args:
      - .address_space:  global
        .offset:         0
        .size:           8
        .value_kind:     global_buffer
      - .actual_access:  read_only
        .address_space:  global
        .offset:         8
        .size:           8
        .value_kind:     global_buffer
      - .actual_access:  read_only
        .address_space:  global
        .offset:         16
        .size:           8
        .value_kind:     global_buffer
      - .actual_access:  read_only
        .address_space:  global
        .offset:         24
        .size:           8
        .value_kind:     global_buffer
      - .actual_access:  read_only
        .address_space:  global
        .offset:         32
        .size:           8
        .value_kind:     global_buffer
      - .offset:         40
        .size:           4
        .value_kind:     by_value
      - .offset:         44
        .size:           4
        .value_kind:     by_value
      - .offset:         48
        .size:           4
        .value_kind:     hidden_block_count_x
      - .offset:         52
        .size:           4
        .value_kind:     hidden_block_count_y
      - .offset:         56
        .size:           4
        .value_kind:     hidden_block_count_z
      - .offset:         60
        .size:           2
        .value_kind:     hidden_group_size_x
      - .offset:         62
        .size:           2
        .value_kind:     hidden_group_size_y
      - .offset:         64
        .size:           2
        .value_kind:     hidden_group_size_z
      - .offset:         66
        .size:           2
        .value_kind:     hidden_remainder_x
      - .offset:         68
        .size:           2
        .value_kind:     hidden_remainder_y
      - .offset:         70
        .size:           2
        .value_kind:     hidden_remainder_z
      - .offset:         88
        .size:           8
        .value_kind:     hidden_global_offset_x
      - .offset:         96
        .size:           8
        .value_kind:     hidden_global_offset_y
      - .offset:         104
        .size:           8
        .value_kind:     hidden_global_offset_z
      - .offset:         112
        .size:           2
        .value_kind:     hidden_grid_dims
    .group_segment_fixed_size: 136
    .kernarg_segment_align: 8
    .kernarg_segment_size: 304
    .language:       OpenCL C
    .language_version:
      - 2
      - 0
    .max_flat_workgroup_size: 1024
    .name:           _Z35generalAddBiasResidualPostLayerNormIfLi32EEvPT_PKS0_S3_S3_S3_fi
    .private_segment_fixed_size: 0
    .sgpr_count:     29
    .sgpr_spill_count: 0
    .symbol:         _Z35generalAddBiasResidualPostLayerNormIfLi32EEvPT_PKS0_S3_S3_S3_fi.kd
    .uniform_work_group_size: 1
    .uses_dynamic_stack: false
    .vgpr_count:     40
    .vgpr_spill_count: 0
    .wavefront_size: 64
  - .agpr_count:     0
    .args:
      - .address_space:  global
        .offset:         0
        .size:           8
        .value_kind:     global_buffer
      - .actual_access:  read_only
        .address_space:  global
        .offset:         8
        .size:           8
        .value_kind:     global_buffer
      - .actual_access:  read_only
        .address_space:  global
        .offset:         16
        .size:           8
        .value_kind:     global_buffer
      - .actual_access:  read_only
        .address_space:  global
        .offset:         24
        .size:           8
        .value_kind:     global_buffer
      - .actual_access:  read_only
        .address_space:  global
        .offset:         32
        .size:           8
        .value_kind:     global_buffer
      - .offset:         40
        .size:           4
        .value_kind:     by_value
      - .offset:         44
        .size:           4
        .value_kind:     by_value
      - .offset:         48
        .size:           4
        .value_kind:     hidden_block_count_x
      - .offset:         52
        .size:           4
        .value_kind:     hidden_block_count_y
      - .offset:         56
        .size:           4
        .value_kind:     hidden_block_count_z
      - .offset:         60
        .size:           2
        .value_kind:     hidden_group_size_x
      - .offset:         62
        .size:           2
        .value_kind:     hidden_group_size_y
      - .offset:         64
        .size:           2
        .value_kind:     hidden_group_size_z
      - .offset:         66
        .size:           2
        .value_kind:     hidden_remainder_x
      - .offset:         68
        .size:           2
        .value_kind:     hidden_remainder_y
      - .offset:         70
        .size:           2
        .value_kind:     hidden_remainder_z
      - .offset:         88
        .size:           8
        .value_kind:     hidden_global_offset_x
      - .offset:         96
        .size:           8
        .value_kind:     hidden_global_offset_y
      - .offset:         104
        .size:           8
        .value_kind:     hidden_global_offset_z
      - .offset:         112
        .size:           2
        .value_kind:     hidden_grid_dims
    .group_segment_fixed_size: 72
    .kernarg_segment_align: 8
    .kernarg_segment_size: 304
    .language:       OpenCL C
    .language_version:
      - 2
      - 0
    .max_flat_workgroup_size: 1024
    .name:           _Z30addBiasResidualPostLayerNormV2I6__halfLi64EEvPT_PKS1_S4_S4_S4_fi
    .private_segment_fixed_size: 0
    .sgpr_count:     23
    .sgpr_spill_count: 0
    .symbol:         _Z30addBiasResidualPostLayerNormV2I6__halfLi64EEvPT_PKS1_S4_S4_S4_fi.kd
    .uniform_work_group_size: 1
    .uses_dynamic_stack: false
    .vgpr_count:     23
    .vgpr_spill_count: 0
    .wavefront_size: 64
  - .agpr_count:     0
    .args:
      - .address_space:  global
        .offset:         0
        .size:           8
        .value_kind:     global_buffer
      - .actual_access:  read_only
        .address_space:  global
        .offset:         8
        .size:           8
        .value_kind:     global_buffer
      - .actual_access:  read_only
        .address_space:  global
        .offset:         16
        .size:           8
        .value_kind:     global_buffer
      - .actual_access:  read_only
        .address_space:  global
        .offset:         24
        .size:           8
        .value_kind:     global_buffer
      - .actual_access:  read_only
        .address_space:  global
        .offset:         32
        .size:           8
        .value_kind:     global_buffer
      - .offset:         40
        .size:           4
        .value_kind:     by_value
      - .offset:         44
        .size:           4
        .value_kind:     by_value
      - .offset:         48
        .size:           4
        .value_kind:     hidden_block_count_x
      - .offset:         52
        .size:           4
        .value_kind:     hidden_block_count_y
      - .offset:         56
        .size:           4
        .value_kind:     hidden_block_count_z
      - .offset:         60
        .size:           2
        .value_kind:     hidden_group_size_x
      - .offset:         62
        .size:           2
        .value_kind:     hidden_group_size_y
      - .offset:         64
        .size:           2
        .value_kind:     hidden_group_size_z
      - .offset:         66
        .size:           2
        .value_kind:     hidden_remainder_x
      - .offset:         68
        .size:           2
        .value_kind:     hidden_remainder_y
      - .offset:         70
        .size:           2
        .value_kind:     hidden_remainder_z
      - .offset:         88
        .size:           8
        .value_kind:     hidden_global_offset_x
      - .offset:         96
        .size:           8
        .value_kind:     hidden_global_offset_y
      - .offset:         104
        .size:           8
        .value_kind:     hidden_global_offset_z
      - .offset:         112
        .size:           2
        .value_kind:     hidden_grid_dims
    .group_segment_fixed_size: 136
    .kernarg_segment_align: 8
    .kernarg_segment_size: 304
    .language:       OpenCL C
    .language_version:
      - 2
      - 0
    .max_flat_workgroup_size: 1024
    .name:           _Z30addBiasResidualPostLayerNormV2I6__halfLi32EEvPT_PKS1_S4_S4_S4_fi
    .private_segment_fixed_size: 0
    .sgpr_count:     19
    .sgpr_spill_count: 0
    .symbol:         _Z30addBiasResidualPostLayerNormV2I6__halfLi32EEvPT_PKS1_S4_S4_S4_fi.kd
    .uniform_work_group_size: 1
    .uses_dynamic_stack: false
    .vgpr_count:     27
    .vgpr_spill_count: 0
    .wavefront_size: 64
  - .agpr_count:     0
    .args:
      - .address_space:  global
        .offset:         0
        .size:           8
        .value_kind:     global_buffer
      - .actual_access:  read_only
        .address_space:  global
        .offset:         8
        .size:           8
        .value_kind:     global_buffer
      - .actual_access:  read_only
        .address_space:  global
        .offset:         16
        .size:           8
        .value_kind:     global_buffer
      - .actual_access:  read_only
        .address_space:  global
        .offset:         24
        .size:           8
        .value_kind:     global_buffer
      - .actual_access:  read_only
        .address_space:  global
        .offset:         32
        .size:           8
        .value_kind:     global_buffer
      - .offset:         40
        .size:           4
        .value_kind:     by_value
      - .offset:         44
        .size:           4
        .value_kind:     by_value
      - .offset:         48
        .size:           4
        .value_kind:     hidden_block_count_x
      - .offset:         52
        .size:           4
        .value_kind:     hidden_block_count_y
      - .offset:         56
        .size:           4
        .value_kind:     hidden_block_count_z
      - .offset:         60
        .size:           2
        .value_kind:     hidden_group_size_x
      - .offset:         62
        .size:           2
        .value_kind:     hidden_group_size_y
      - .offset:         64
        .size:           2
        .value_kind:     hidden_group_size_z
      - .offset:         66
        .size:           2
        .value_kind:     hidden_remainder_x
      - .offset:         68
        .size:           2
        .value_kind:     hidden_remainder_y
      - .offset:         70
        .size:           2
        .value_kind:     hidden_remainder_z
      - .offset:         88
        .size:           8
        .value_kind:     hidden_global_offset_x
      - .offset:         96
        .size:           8
        .value_kind:     hidden_global_offset_y
      - .offset:         104
        .size:           8
        .value_kind:     hidden_global_offset_z
      - .offset:         112
        .size:           2
        .value_kind:     hidden_grid_dims
    .group_segment_fixed_size: 72
    .kernarg_segment_align: 8
    .kernarg_segment_size: 304
    .language:       OpenCL C
    .language_version:
      - 2
      - 0
    .max_flat_workgroup_size: 1024
    .name:           _Z28addBiasResidualPostLayerNormI6__halfLi1ELi64EEvPT_PKS1_S4_S4_S4_fi
    .private_segment_fixed_size: 0
    .sgpr_count:     24
    .sgpr_spill_count: 0
    .symbol:         _Z28addBiasResidualPostLayerNormI6__halfLi1ELi64EEvPT_PKS1_S4_S4_S4_fi.kd
    .uniform_work_group_size: 1
    .uses_dynamic_stack: false
    .vgpr_count:     18
    .vgpr_spill_count: 0
    .wavefront_size: 64
  - .agpr_count:     0
    .args:
      - .address_space:  global
        .offset:         0
        .size:           8
        .value_kind:     global_buffer
      - .actual_access:  read_only
        .address_space:  global
        .offset:         8
        .size:           8
        .value_kind:     global_buffer
      - .actual_access:  read_only
        .address_space:  global
        .offset:         16
        .size:           8
        .value_kind:     global_buffer
      - .actual_access:  read_only
        .address_space:  global
        .offset:         24
        .size:           8
        .value_kind:     global_buffer
      - .actual_access:  read_only
        .address_space:  global
        .offset:         32
        .size:           8
        .value_kind:     global_buffer
      - .offset:         40
        .size:           4
        .value_kind:     by_value
      - .offset:         44
        .size:           4
        .value_kind:     by_value
      - .offset:         48
        .size:           4
        .value_kind:     hidden_block_count_x
      - .offset:         52
        .size:           4
        .value_kind:     hidden_block_count_y
      - .offset:         56
        .size:           4
        .value_kind:     hidden_block_count_z
      - .offset:         60
        .size:           2
        .value_kind:     hidden_group_size_x
      - .offset:         62
        .size:           2
        .value_kind:     hidden_group_size_y
      - .offset:         64
        .size:           2
        .value_kind:     hidden_group_size_z
      - .offset:         66
        .size:           2
        .value_kind:     hidden_remainder_x
      - .offset:         68
        .size:           2
        .value_kind:     hidden_remainder_y
      - .offset:         70
        .size:           2
        .value_kind:     hidden_remainder_z
      - .offset:         88
        .size:           8
        .value_kind:     hidden_global_offset_x
      - .offset:         96
        .size:           8
        .value_kind:     hidden_global_offset_y
      - .offset:         104
        .size:           8
        .value_kind:     hidden_global_offset_z
      - .offset:         112
        .size:           2
        .value_kind:     hidden_grid_dims
    .group_segment_fixed_size: 72
    .kernarg_segment_align: 8
    .kernarg_segment_size: 304
    .language:       OpenCL C
    .language_version:
      - 2
      - 0
    .max_flat_workgroup_size: 1024
    .name:           _Z28addBiasResidualPostLayerNormI6__halfLi2ELi64EEvPT_PKS1_S4_S4_S4_fi
    .private_segment_fixed_size: 0
    .sgpr_count:     24
    .sgpr_spill_count: 0
    .symbol:         _Z28addBiasResidualPostLayerNormI6__halfLi2ELi64EEvPT_PKS1_S4_S4_S4_fi.kd
    .uniform_work_group_size: 1
    .uses_dynamic_stack: false
    .vgpr_count:     20
    .vgpr_spill_count: 0
    .wavefront_size: 64
  - .agpr_count:     0
    .args:
      - .address_space:  global
        .offset:         0
        .size:           8
        .value_kind:     global_buffer
      - .actual_access:  read_only
        .address_space:  global
        .offset:         8
        .size:           8
        .value_kind:     global_buffer
      - .actual_access:  read_only
        .address_space:  global
        .offset:         16
        .size:           8
        .value_kind:     global_buffer
      - .actual_access:  read_only
        .address_space:  global
        .offset:         24
        .size:           8
        .value_kind:     global_buffer
      - .actual_access:  read_only
        .address_space:  global
        .offset:         32
        .size:           8
        .value_kind:     global_buffer
      - .offset:         40
        .size:           4
        .value_kind:     by_value
      - .offset:         44
        .size:           4
        .value_kind:     by_value
      - .offset:         48
        .size:           4
        .value_kind:     hidden_block_count_x
      - .offset:         52
        .size:           4
        .value_kind:     hidden_block_count_y
      - .offset:         56
        .size:           4
        .value_kind:     hidden_block_count_z
      - .offset:         60
        .size:           2
        .value_kind:     hidden_group_size_x
      - .offset:         62
        .size:           2
        .value_kind:     hidden_group_size_y
      - .offset:         64
        .size:           2
        .value_kind:     hidden_group_size_z
      - .offset:         66
        .size:           2
        .value_kind:     hidden_remainder_x
      - .offset:         68
        .size:           2
        .value_kind:     hidden_remainder_y
      - .offset:         70
        .size:           2
        .value_kind:     hidden_remainder_z
      - .offset:         88
        .size:           8
        .value_kind:     hidden_global_offset_x
      - .offset:         96
        .size:           8
        .value_kind:     hidden_global_offset_y
      - .offset:         104
        .size:           8
        .value_kind:     hidden_global_offset_z
      - .offset:         112
        .size:           2
        .value_kind:     hidden_grid_dims
    .group_segment_fixed_size: 72
    .kernarg_segment_align: 8
    .kernarg_segment_size: 304
    .language:       OpenCL C
    .language_version:
      - 2
      - 0
    .max_flat_workgroup_size: 1024
    .name:           _Z35generalAddBiasResidualPostLayerNormI6__halfLi64EEvPT_PKS1_S4_S4_S4_fi
    .private_segment_fixed_size: 0
    .sgpr_count:     29
    .sgpr_spill_count: 0
    .symbol:         _Z35generalAddBiasResidualPostLayerNormI6__halfLi64EEvPT_PKS1_S4_S4_S4_fi.kd
    .uniform_work_group_size: 1
    .uses_dynamic_stack: false
    .vgpr_count:     21
    .vgpr_spill_count: 0
    .wavefront_size: 64
  - .agpr_count:     0
    .args:
      - .address_space:  global
        .offset:         0
        .size:           8
        .value_kind:     global_buffer
      - .actual_access:  read_only
        .address_space:  global
        .offset:         8
        .size:           8
        .value_kind:     global_buffer
      - .actual_access:  read_only
        .address_space:  global
        .offset:         16
        .size:           8
        .value_kind:     global_buffer
      - .actual_access:  read_only
        .address_space:  global
        .offset:         24
        .size:           8
        .value_kind:     global_buffer
      - .actual_access:  read_only
        .address_space:  global
        .offset:         32
        .size:           8
        .value_kind:     global_buffer
      - .offset:         40
        .size:           4
        .value_kind:     by_value
      - .offset:         44
        .size:           4
        .value_kind:     by_value
      - .offset:         48
        .size:           4
        .value_kind:     hidden_block_count_x
      - .offset:         52
        .size:           4
        .value_kind:     hidden_block_count_y
      - .offset:         56
        .size:           4
        .value_kind:     hidden_block_count_z
      - .offset:         60
        .size:           2
        .value_kind:     hidden_group_size_x
      - .offset:         62
        .size:           2
        .value_kind:     hidden_group_size_y
      - .offset:         64
        .size:           2
        .value_kind:     hidden_group_size_z
      - .offset:         66
        .size:           2
        .value_kind:     hidden_remainder_x
      - .offset:         68
        .size:           2
        .value_kind:     hidden_remainder_y
      - .offset:         70
        .size:           2
        .value_kind:     hidden_remainder_z
      - .offset:         88
        .size:           8
        .value_kind:     hidden_global_offset_x
      - .offset:         96
        .size:           8
        .value_kind:     hidden_global_offset_y
      - .offset:         104
        .size:           8
        .value_kind:     hidden_global_offset_z
      - .offset:         112
        .size:           2
        .value_kind:     hidden_grid_dims
    .group_segment_fixed_size: 136
    .kernarg_segment_align: 8
    .kernarg_segment_size: 304
    .language:       OpenCL C
    .language_version:
      - 2
      - 0
    .max_flat_workgroup_size: 1024
    .name:           _Z28addBiasResidualPostLayerNormI6__halfLi1ELi32EEvPT_PKS1_S4_S4_S4_fi
    .private_segment_fixed_size: 0
    .sgpr_count:     24
    .sgpr_spill_count: 0
    .symbol:         _Z28addBiasResidualPostLayerNormI6__halfLi1ELi32EEvPT_PKS1_S4_S4_S4_fi.kd
    .uniform_work_group_size: 1
    .uses_dynamic_stack: false
    .vgpr_count:     17
    .vgpr_spill_count: 0
    .wavefront_size: 64
  - .agpr_count:     0
    .args:
      - .address_space:  global
        .offset:         0
        .size:           8
        .value_kind:     global_buffer
      - .actual_access:  read_only
        .address_space:  global
        .offset:         8
        .size:           8
        .value_kind:     global_buffer
      - .actual_access:  read_only
        .address_space:  global
        .offset:         16
        .size:           8
        .value_kind:     global_buffer
      - .actual_access:  read_only
        .address_space:  global
        .offset:         24
        .size:           8
        .value_kind:     global_buffer
      - .actual_access:  read_only
        .address_space:  global
        .offset:         32
        .size:           8
        .value_kind:     global_buffer
      - .offset:         40
        .size:           4
        .value_kind:     by_value
      - .offset:         44
        .size:           4
        .value_kind:     by_value
      - .offset:         48
        .size:           4
        .value_kind:     hidden_block_count_x
      - .offset:         52
        .size:           4
        .value_kind:     hidden_block_count_y
      - .offset:         56
        .size:           4
        .value_kind:     hidden_block_count_z
      - .offset:         60
        .size:           2
        .value_kind:     hidden_group_size_x
      - .offset:         62
        .size:           2
        .value_kind:     hidden_group_size_y
      - .offset:         64
        .size:           2
        .value_kind:     hidden_group_size_z
      - .offset:         66
        .size:           2
        .value_kind:     hidden_remainder_x
      - .offset:         68
        .size:           2
        .value_kind:     hidden_remainder_y
      - .offset:         70
        .size:           2
        .value_kind:     hidden_remainder_z
      - .offset:         88
        .size:           8
        .value_kind:     hidden_global_offset_x
      - .offset:         96
        .size:           8
        .value_kind:     hidden_global_offset_y
      - .offset:         104
        .size:           8
        .value_kind:     hidden_global_offset_z
      - .offset:         112
        .size:           2
        .value_kind:     hidden_grid_dims
    .group_segment_fixed_size: 136
    .kernarg_segment_align: 8
    .kernarg_segment_size: 304
    .language:       OpenCL C
    .language_version:
      - 2
      - 0
    .max_flat_workgroup_size: 1024
    .name:           _Z28addBiasResidualPostLayerNormI6__halfLi2ELi32EEvPT_PKS1_S4_S4_S4_fi
    .private_segment_fixed_size: 0
    .sgpr_count:     24
    .sgpr_spill_count: 0
    .symbol:         _Z28addBiasResidualPostLayerNormI6__halfLi2ELi32EEvPT_PKS1_S4_S4_S4_fi.kd
    .uniform_work_group_size: 1
    .uses_dynamic_stack: false
    .vgpr_count:     19
    .vgpr_spill_count: 0
    .wavefront_size: 64
  - .agpr_count:     0
    .args:
      - .address_space:  global
        .offset:         0
        .size:           8
        .value_kind:     global_buffer
      - .actual_access:  read_only
        .address_space:  global
        .offset:         8
        .size:           8
        .value_kind:     global_buffer
      - .actual_access:  read_only
        .address_space:  global
        .offset:         16
        .size:           8
        .value_kind:     global_buffer
      - .actual_access:  read_only
        .address_space:  global
        .offset:         24
        .size:           8
        .value_kind:     global_buffer
      - .actual_access:  read_only
        .address_space:  global
        .offset:         32
        .size:           8
        .value_kind:     global_buffer
      - .offset:         40
        .size:           4
        .value_kind:     by_value
      - .offset:         44
        .size:           4
        .value_kind:     by_value
      - .offset:         48
        .size:           4
        .value_kind:     hidden_block_count_x
      - .offset:         52
        .size:           4
        .value_kind:     hidden_block_count_y
      - .offset:         56
        .size:           4
        .value_kind:     hidden_block_count_z
      - .offset:         60
        .size:           2
        .value_kind:     hidden_group_size_x
      - .offset:         62
        .size:           2
        .value_kind:     hidden_group_size_y
      - .offset:         64
        .size:           2
        .value_kind:     hidden_group_size_z
      - .offset:         66
        .size:           2
        .value_kind:     hidden_remainder_x
      - .offset:         68
        .size:           2
        .value_kind:     hidden_remainder_y
      - .offset:         70
        .size:           2
        .value_kind:     hidden_remainder_z
      - .offset:         88
        .size:           8
        .value_kind:     hidden_global_offset_x
      - .offset:         96
        .size:           8
        .value_kind:     hidden_global_offset_y
      - .offset:         104
        .size:           8
        .value_kind:     hidden_global_offset_z
      - .offset:         112
        .size:           2
        .value_kind:     hidden_grid_dims
    .group_segment_fixed_size: 136
    .kernarg_segment_align: 8
    .kernarg_segment_size: 304
    .language:       OpenCL C
    .language_version:
      - 2
      - 0
    .max_flat_workgroup_size: 1024
    .name:           _Z35generalAddBiasResidualPostLayerNormI6__halfLi32EEvPT_PKS1_S4_S4_S4_fi
    .private_segment_fixed_size: 0
    .sgpr_count:     29
    .sgpr_spill_count: 0
    .symbol:         _Z35generalAddBiasResidualPostLayerNormI6__halfLi32EEvPT_PKS1_S4_S4_S4_fi.kd
    .uniform_work_group_size: 1
    .uses_dynamic_stack: false
    .vgpr_count:     21
    .vgpr_spill_count: 0
    .wavefront_size: 64
  - .agpr_count:     0
    .args:
      - .address_space:  global
        .offset:         0
        .size:           8
        .value_kind:     global_buffer
      - .actual_access:  read_only
        .address_space:  global
        .offset:         8
        .size:           8
        .value_kind:     global_buffer
      - .actual_access:  read_only
        .address_space:  global
        .offset:         16
        .size:           8
        .value_kind:     global_buffer
      - .actual_access:  read_only
        .address_space:  global
        .offset:         24
        .size:           8
        .value_kind:     global_buffer
      - .actual_access:  read_only
        .address_space:  global
        .offset:         32
        .size:           8
        .value_kind:     global_buffer
      - .offset:         40
        .size:           4
        .value_kind:     by_value
      - .offset:         44
        .size:           4
        .value_kind:     by_value
      - .offset:         48
        .size:           4
        .value_kind:     hidden_block_count_x
      - .offset:         52
        .size:           4
        .value_kind:     hidden_block_count_y
      - .offset:         56
        .size:           4
        .value_kind:     hidden_block_count_z
      - .offset:         60
        .size:           2
        .value_kind:     hidden_group_size_x
      - .offset:         62
        .size:           2
        .value_kind:     hidden_group_size_y
      - .offset:         64
        .size:           2
        .value_kind:     hidden_group_size_z
      - .offset:         66
        .size:           2
        .value_kind:     hidden_remainder_x
      - .offset:         68
        .size:           2
        .value_kind:     hidden_remainder_y
      - .offset:         70
        .size:           2
        .value_kind:     hidden_remainder_z
      - .offset:         88
        .size:           8
        .value_kind:     hidden_global_offset_x
      - .offset:         96
        .size:           8
        .value_kind:     hidden_global_offset_y
      - .offset:         104
        .size:           8
        .value_kind:     hidden_global_offset_z
      - .offset:         112
        .size:           2
        .value_kind:     hidden_grid_dims
    .group_segment_fixed_size: 72
    .kernarg_segment_align: 8
    .kernarg_segment_size: 304
    .language:       OpenCL C
    .language_version:
      - 2
      - 0
    .max_flat_workgroup_size: 1024
    .name:           _Z30addBiasResidualPostLayerNormV2I14__hip_bfloat16Li64EEvPT_PKS1_S4_S4_S4_fi
    .private_segment_fixed_size: 0
    .sgpr_count:     20
    .sgpr_spill_count: 0
    .symbol:         _Z30addBiasResidualPostLayerNormV2I14__hip_bfloat16Li64EEvPT_PKS1_S4_S4_S4_fi.kd
    .uniform_work_group_size: 1
    .uses_dynamic_stack: false
    .vgpr_count:     32
    .vgpr_spill_count: 0
    .wavefront_size: 64
  - .agpr_count:     0
    .args:
      - .address_space:  global
        .offset:         0
        .size:           8
        .value_kind:     global_buffer
      - .actual_access:  read_only
        .address_space:  global
        .offset:         8
        .size:           8
        .value_kind:     global_buffer
      - .actual_access:  read_only
        .address_space:  global
        .offset:         16
        .size:           8
        .value_kind:     global_buffer
      - .actual_access:  read_only
        .address_space:  global
        .offset:         24
        .size:           8
        .value_kind:     global_buffer
      - .actual_access:  read_only
        .address_space:  global
        .offset:         32
        .size:           8
        .value_kind:     global_buffer
      - .offset:         40
        .size:           4
        .value_kind:     by_value
      - .offset:         44
        .size:           4
        .value_kind:     by_value
      - .offset:         48
        .size:           4
        .value_kind:     hidden_block_count_x
      - .offset:         52
        .size:           4
        .value_kind:     hidden_block_count_y
      - .offset:         56
        .size:           4
        .value_kind:     hidden_block_count_z
      - .offset:         60
        .size:           2
        .value_kind:     hidden_group_size_x
      - .offset:         62
        .size:           2
        .value_kind:     hidden_group_size_y
      - .offset:         64
        .size:           2
        .value_kind:     hidden_group_size_z
      - .offset:         66
        .size:           2
        .value_kind:     hidden_remainder_x
      - .offset:         68
        .size:           2
        .value_kind:     hidden_remainder_y
      - .offset:         70
        .size:           2
        .value_kind:     hidden_remainder_z
      - .offset:         88
        .size:           8
        .value_kind:     hidden_global_offset_x
      - .offset:         96
        .size:           8
        .value_kind:     hidden_global_offset_y
      - .offset:         104
        .size:           8
        .value_kind:     hidden_global_offset_z
      - .offset:         112
        .size:           2
        .value_kind:     hidden_grid_dims
    .group_segment_fixed_size: 136
    .kernarg_segment_align: 8
    .kernarg_segment_size: 304
    .language:       OpenCL C
    .language_version:
      - 2
      - 0
    .max_flat_workgroup_size: 1024
    .name:           _Z30addBiasResidualPostLayerNormV2I14__hip_bfloat16Li32EEvPT_PKS1_S4_S4_S4_fi
    .private_segment_fixed_size: 0
    .sgpr_count:     20
    .sgpr_spill_count: 0
    .symbol:         _Z30addBiasResidualPostLayerNormV2I14__hip_bfloat16Li32EEvPT_PKS1_S4_S4_S4_fi.kd
    .uniform_work_group_size: 1
    .uses_dynamic_stack: false
    .vgpr_count:     31
    .vgpr_spill_count: 0
    .wavefront_size: 64
  - .agpr_count:     0
    .args:
      - .address_space:  global
        .offset:         0
        .size:           8
        .value_kind:     global_buffer
      - .actual_access:  read_only
        .address_space:  global
        .offset:         8
        .size:           8
        .value_kind:     global_buffer
      - .actual_access:  read_only
        .address_space:  global
        .offset:         16
        .size:           8
        .value_kind:     global_buffer
      - .actual_access:  read_only
        .address_space:  global
        .offset:         24
        .size:           8
        .value_kind:     global_buffer
      - .actual_access:  read_only
        .address_space:  global
        .offset:         32
        .size:           8
        .value_kind:     global_buffer
      - .offset:         40
        .size:           4
        .value_kind:     by_value
      - .offset:         44
        .size:           4
        .value_kind:     by_value
      - .offset:         48
        .size:           4
        .value_kind:     hidden_block_count_x
      - .offset:         52
        .size:           4
        .value_kind:     hidden_block_count_y
      - .offset:         56
        .size:           4
        .value_kind:     hidden_block_count_z
      - .offset:         60
        .size:           2
        .value_kind:     hidden_group_size_x
      - .offset:         62
        .size:           2
        .value_kind:     hidden_group_size_y
      - .offset:         64
        .size:           2
        .value_kind:     hidden_group_size_z
      - .offset:         66
        .size:           2
        .value_kind:     hidden_remainder_x
      - .offset:         68
        .size:           2
        .value_kind:     hidden_remainder_y
      - .offset:         70
        .size:           2
        .value_kind:     hidden_remainder_z
      - .offset:         88
        .size:           8
        .value_kind:     hidden_global_offset_x
      - .offset:         96
        .size:           8
        .value_kind:     hidden_global_offset_y
      - .offset:         104
        .size:           8
        .value_kind:     hidden_global_offset_z
      - .offset:         112
        .size:           2
        .value_kind:     hidden_grid_dims
    .group_segment_fixed_size: 72
    .kernarg_segment_align: 8
    .kernarg_segment_size: 304
    .language:       OpenCL C
    .language_version:
      - 2
      - 0
    .max_flat_workgroup_size: 1024
    .name:           _Z28addBiasResidualPostLayerNormI14__hip_bfloat16Li1ELi64EEvPT_PKS1_S4_S4_S4_fi
    .private_segment_fixed_size: 0
    .sgpr_count:     24
    .sgpr_spill_count: 0
    .symbol:         _Z28addBiasResidualPostLayerNormI14__hip_bfloat16Li1ELi64EEvPT_PKS1_S4_S4_S4_fi.kd
    .uniform_work_group_size: 1
    .uses_dynamic_stack: false
    .vgpr_count:     18
    .vgpr_spill_count: 0
    .wavefront_size: 64
  - .agpr_count:     0
    .args:
      - .address_space:  global
        .offset:         0
        .size:           8
        .value_kind:     global_buffer
      - .actual_access:  read_only
        .address_space:  global
        .offset:         8
        .size:           8
        .value_kind:     global_buffer
      - .actual_access:  read_only
        .address_space:  global
        .offset:         16
        .size:           8
        .value_kind:     global_buffer
      - .actual_access:  read_only
        .address_space:  global
        .offset:         24
        .size:           8
        .value_kind:     global_buffer
      - .actual_access:  read_only
        .address_space:  global
        .offset:         32
        .size:           8
        .value_kind:     global_buffer
      - .offset:         40
        .size:           4
        .value_kind:     by_value
      - .offset:         44
        .size:           4
        .value_kind:     by_value
      - .offset:         48
        .size:           4
        .value_kind:     hidden_block_count_x
      - .offset:         52
        .size:           4
        .value_kind:     hidden_block_count_y
      - .offset:         56
        .size:           4
        .value_kind:     hidden_block_count_z
      - .offset:         60
        .size:           2
        .value_kind:     hidden_group_size_x
      - .offset:         62
        .size:           2
        .value_kind:     hidden_group_size_y
      - .offset:         64
        .size:           2
        .value_kind:     hidden_group_size_z
      - .offset:         66
        .size:           2
        .value_kind:     hidden_remainder_x
      - .offset:         68
        .size:           2
        .value_kind:     hidden_remainder_y
      - .offset:         70
        .size:           2
        .value_kind:     hidden_remainder_z
      - .offset:         88
        .size:           8
        .value_kind:     hidden_global_offset_x
      - .offset:         96
        .size:           8
        .value_kind:     hidden_global_offset_y
      - .offset:         104
        .size:           8
        .value_kind:     hidden_global_offset_z
      - .offset:         112
        .size:           2
        .value_kind:     hidden_grid_dims
    .group_segment_fixed_size: 72
    .kernarg_segment_align: 8
    .kernarg_segment_size: 304
    .language:       OpenCL C
    .language_version:
      - 2
      - 0
    .max_flat_workgroup_size: 1024
    .name:           _Z28addBiasResidualPostLayerNormI14__hip_bfloat16Li2ELi64EEvPT_PKS1_S4_S4_S4_fi
    .private_segment_fixed_size: 0
    .sgpr_count:     28
    .sgpr_spill_count: 0
    .symbol:         _Z28addBiasResidualPostLayerNormI14__hip_bfloat16Li2ELi64EEvPT_PKS1_S4_S4_S4_fi.kd
    .uniform_work_group_size: 1
    .uses_dynamic_stack: false
    .vgpr_count:     20
    .vgpr_spill_count: 0
    .wavefront_size: 64
  - .agpr_count:     0
    .args:
      - .address_space:  global
        .offset:         0
        .size:           8
        .value_kind:     global_buffer
      - .actual_access:  read_only
        .address_space:  global
        .offset:         8
        .size:           8
        .value_kind:     global_buffer
      - .actual_access:  read_only
        .address_space:  global
        .offset:         16
        .size:           8
        .value_kind:     global_buffer
      - .actual_access:  read_only
        .address_space:  global
        .offset:         24
        .size:           8
        .value_kind:     global_buffer
      - .actual_access:  read_only
        .address_space:  global
        .offset:         32
        .size:           8
        .value_kind:     global_buffer
      - .offset:         40
        .size:           4
        .value_kind:     by_value
      - .offset:         44
        .size:           4
        .value_kind:     by_value
      - .offset:         48
        .size:           4
        .value_kind:     hidden_block_count_x
      - .offset:         52
        .size:           4
        .value_kind:     hidden_block_count_y
      - .offset:         56
        .size:           4
        .value_kind:     hidden_block_count_z
      - .offset:         60
        .size:           2
        .value_kind:     hidden_group_size_x
      - .offset:         62
        .size:           2
        .value_kind:     hidden_group_size_y
      - .offset:         64
        .size:           2
        .value_kind:     hidden_group_size_z
      - .offset:         66
        .size:           2
        .value_kind:     hidden_remainder_x
      - .offset:         68
        .size:           2
        .value_kind:     hidden_remainder_y
      - .offset:         70
        .size:           2
        .value_kind:     hidden_remainder_z
      - .offset:         88
        .size:           8
        .value_kind:     hidden_global_offset_x
      - .offset:         96
        .size:           8
        .value_kind:     hidden_global_offset_y
      - .offset:         104
        .size:           8
        .value_kind:     hidden_global_offset_z
      - .offset:         112
        .size:           2
        .value_kind:     hidden_grid_dims
    .group_segment_fixed_size: 72
    .kernarg_segment_align: 8
    .kernarg_segment_size: 304
    .language:       OpenCL C
    .language_version:
      - 2
      - 0
    .max_flat_workgroup_size: 1024
    .name:           _Z35generalAddBiasResidualPostLayerNormI14__hip_bfloat16Li64EEvPT_PKS1_S4_S4_S4_fi
    .private_segment_fixed_size: 0
    .sgpr_count:     42
    .sgpr_spill_count: 0
    .symbol:         _Z35generalAddBiasResidualPostLayerNormI14__hip_bfloat16Li64EEvPT_PKS1_S4_S4_S4_fi.kd
    .uniform_work_group_size: 1
    .uses_dynamic_stack: false
    .vgpr_count:     58
    .vgpr_spill_count: 0
    .wavefront_size: 64
  - .agpr_count:     0
    .args:
      - .address_space:  global
        .offset:         0
        .size:           8
        .value_kind:     global_buffer
      - .actual_access:  read_only
        .address_space:  global
        .offset:         8
        .size:           8
        .value_kind:     global_buffer
      - .actual_access:  read_only
        .address_space:  global
        .offset:         16
        .size:           8
        .value_kind:     global_buffer
      - .actual_access:  read_only
        .address_space:  global
        .offset:         24
        .size:           8
        .value_kind:     global_buffer
      - .actual_access:  read_only
        .address_space:  global
        .offset:         32
        .size:           8
        .value_kind:     global_buffer
      - .offset:         40
        .size:           4
        .value_kind:     by_value
      - .offset:         44
        .size:           4
        .value_kind:     by_value
      - .offset:         48
        .size:           4
        .value_kind:     hidden_block_count_x
      - .offset:         52
        .size:           4
        .value_kind:     hidden_block_count_y
      - .offset:         56
        .size:           4
        .value_kind:     hidden_block_count_z
      - .offset:         60
        .size:           2
        .value_kind:     hidden_group_size_x
      - .offset:         62
        .size:           2
        .value_kind:     hidden_group_size_y
      - .offset:         64
        .size:           2
        .value_kind:     hidden_group_size_z
      - .offset:         66
        .size:           2
        .value_kind:     hidden_remainder_x
      - .offset:         68
        .size:           2
        .value_kind:     hidden_remainder_y
      - .offset:         70
        .size:           2
        .value_kind:     hidden_remainder_z
      - .offset:         88
        .size:           8
        .value_kind:     hidden_global_offset_x
      - .offset:         96
        .size:           8
        .value_kind:     hidden_global_offset_y
      - .offset:         104
        .size:           8
        .value_kind:     hidden_global_offset_z
      - .offset:         112
        .size:           2
        .value_kind:     hidden_grid_dims
    .group_segment_fixed_size: 136
    .kernarg_segment_align: 8
    .kernarg_segment_size: 304
    .language:       OpenCL C
    .language_version:
      - 2
      - 0
    .max_flat_workgroup_size: 1024
    .name:           _Z28addBiasResidualPostLayerNormI14__hip_bfloat16Li1ELi32EEvPT_PKS1_S4_S4_S4_fi
    .private_segment_fixed_size: 0
    .sgpr_count:     24
    .sgpr_spill_count: 0
    .symbol:         _Z28addBiasResidualPostLayerNormI14__hip_bfloat16Li1ELi32EEvPT_PKS1_S4_S4_S4_fi.kd
    .uniform_work_group_size: 1
    .uses_dynamic_stack: false
    .vgpr_count:     17
    .vgpr_spill_count: 0
    .wavefront_size: 64
  - .agpr_count:     0
    .args:
      - .address_space:  global
        .offset:         0
        .size:           8
        .value_kind:     global_buffer
      - .actual_access:  read_only
        .address_space:  global
        .offset:         8
        .size:           8
        .value_kind:     global_buffer
      - .actual_access:  read_only
        .address_space:  global
        .offset:         16
        .size:           8
        .value_kind:     global_buffer
      - .actual_access:  read_only
        .address_space:  global
        .offset:         24
        .size:           8
        .value_kind:     global_buffer
      - .actual_access:  read_only
        .address_space:  global
        .offset:         32
        .size:           8
        .value_kind:     global_buffer
      - .offset:         40
        .size:           4
        .value_kind:     by_value
      - .offset:         44
        .size:           4
        .value_kind:     by_value
      - .offset:         48
        .size:           4
        .value_kind:     hidden_block_count_x
      - .offset:         52
        .size:           4
        .value_kind:     hidden_block_count_y
      - .offset:         56
        .size:           4
        .value_kind:     hidden_block_count_z
      - .offset:         60
        .size:           2
        .value_kind:     hidden_group_size_x
      - .offset:         62
        .size:           2
        .value_kind:     hidden_group_size_y
      - .offset:         64
        .size:           2
        .value_kind:     hidden_group_size_z
      - .offset:         66
        .size:           2
        .value_kind:     hidden_remainder_x
      - .offset:         68
        .size:           2
        .value_kind:     hidden_remainder_y
      - .offset:         70
        .size:           2
        .value_kind:     hidden_remainder_z
      - .offset:         88
        .size:           8
        .value_kind:     hidden_global_offset_x
      - .offset:         96
        .size:           8
        .value_kind:     hidden_global_offset_y
      - .offset:         104
        .size:           8
        .value_kind:     hidden_global_offset_z
      - .offset:         112
        .size:           2
        .value_kind:     hidden_grid_dims
    .group_segment_fixed_size: 136
    .kernarg_segment_align: 8
    .kernarg_segment_size: 304
    .language:       OpenCL C
    .language_version:
      - 2
      - 0
    .max_flat_workgroup_size: 1024
    .name:           _Z28addBiasResidualPostLayerNormI14__hip_bfloat16Li2ELi32EEvPT_PKS1_S4_S4_S4_fi
    .private_segment_fixed_size: 0
    .sgpr_count:     28
    .sgpr_spill_count: 0
    .symbol:         _Z28addBiasResidualPostLayerNormI14__hip_bfloat16Li2ELi32EEvPT_PKS1_S4_S4_S4_fi.kd
    .uniform_work_group_size: 1
    .uses_dynamic_stack: false
    .vgpr_count:     19
    .vgpr_spill_count: 0
    .wavefront_size: 64
  - .agpr_count:     0
    .args:
      - .address_space:  global
        .offset:         0
        .size:           8
        .value_kind:     global_buffer
      - .actual_access:  read_only
        .address_space:  global
        .offset:         8
        .size:           8
        .value_kind:     global_buffer
      - .actual_access:  read_only
        .address_space:  global
        .offset:         16
        .size:           8
        .value_kind:     global_buffer
      - .actual_access:  read_only
        .address_space:  global
        .offset:         24
        .size:           8
        .value_kind:     global_buffer
      - .actual_access:  read_only
        .address_space:  global
        .offset:         32
        .size:           8
        .value_kind:     global_buffer
      - .offset:         40
        .size:           4
        .value_kind:     by_value
      - .offset:         44
        .size:           4
        .value_kind:     by_value
      - .offset:         48
        .size:           4
        .value_kind:     hidden_block_count_x
      - .offset:         52
        .size:           4
        .value_kind:     hidden_block_count_y
      - .offset:         56
        .size:           4
        .value_kind:     hidden_block_count_z
      - .offset:         60
        .size:           2
        .value_kind:     hidden_group_size_x
      - .offset:         62
        .size:           2
        .value_kind:     hidden_group_size_y
      - .offset:         64
        .size:           2
        .value_kind:     hidden_group_size_z
      - .offset:         66
        .size:           2
        .value_kind:     hidden_remainder_x
      - .offset:         68
        .size:           2
        .value_kind:     hidden_remainder_y
      - .offset:         70
        .size:           2
        .value_kind:     hidden_remainder_z
      - .offset:         88
        .size:           8
        .value_kind:     hidden_global_offset_x
      - .offset:         96
        .size:           8
        .value_kind:     hidden_global_offset_y
      - .offset:         104
        .size:           8
        .value_kind:     hidden_global_offset_z
      - .offset:         112
        .size:           2
        .value_kind:     hidden_grid_dims
    .group_segment_fixed_size: 136
    .kernarg_segment_align: 8
    .kernarg_segment_size: 304
    .language:       OpenCL C
    .language_version:
      - 2
      - 0
    .max_flat_workgroup_size: 1024
    .name:           _Z35generalAddBiasResidualPostLayerNormI14__hip_bfloat16Li32EEvPT_PKS1_S4_S4_S4_fi
    .private_segment_fixed_size: 0
    .sgpr_count:     42
    .sgpr_spill_count: 0
    .symbol:         _Z35generalAddBiasResidualPostLayerNormI14__hip_bfloat16Li32EEvPT_PKS1_S4_S4_S4_fi.kd
    .uniform_work_group_size: 1
    .uses_dynamic_stack: false
    .vgpr_count:     58
    .vgpr_spill_count: 0
    .wavefront_size: 64
amdhsa.target:   amdgcn-amd-amdhsa--gfx90a
amdhsa.version:
  - 1
  - 2
...

	.end_amdgpu_metadata
